;; amdgpu-corpus repo=ROCm/rocFFT kind=compiled arch=gfx906 opt=O3
	.text
	.amdgcn_target "amdgcn-amd-amdhsa--gfx906"
	.amdhsa_code_object_version 6
	.protected	fft_rtc_back_len2002_factors_2_13_7_11_wgs_182_tpt_182_halfLds_dp_ip_CI_unitstride_sbrr_R2C_dirReg ; -- Begin function fft_rtc_back_len2002_factors_2_13_7_11_wgs_182_tpt_182_halfLds_dp_ip_CI_unitstride_sbrr_R2C_dirReg
	.globl	fft_rtc_back_len2002_factors_2_13_7_11_wgs_182_tpt_182_halfLds_dp_ip_CI_unitstride_sbrr_R2C_dirReg
	.p2align	8
	.type	fft_rtc_back_len2002_factors_2_13_7_11_wgs_182_tpt_182_halfLds_dp_ip_CI_unitstride_sbrr_R2C_dirReg,@function
fft_rtc_back_len2002_factors_2_13_7_11_wgs_182_tpt_182_halfLds_dp_ip_CI_unitstride_sbrr_R2C_dirReg: ; @fft_rtc_back_len2002_factors_2_13_7_11_wgs_182_tpt_182_halfLds_dp_ip_CI_unitstride_sbrr_R2C_dirReg
; %bb.0:
	s_mov_b64 s[50:51], s[2:3]
	s_mov_b64 s[48:49], s[0:1]
	s_load_dwordx2 s[12:13], s[4:5], 0x50
	s_load_dwordx4 s[8:11], s[4:5], 0x0
	s_load_dwordx2 s[2:3], s[4:5], 0x18
	v_mul_u32_u24_e32 v1, 0x169, v0
	s_add_u32 s48, s48, s7
	v_add_u32_sdwa v5, s6, v1 dst_sel:DWORD dst_unused:UNUSED_PAD src0_sel:DWORD src1_sel:WORD_1
	s_waitcnt lgkmcnt(0)
	v_cmp_lt_u64_e64 s[0:1], s[10:11], 2
	v_mov_b32_e32 v3, 0
	v_mov_b32_e32 v1, 0
	s_addc_u32 s49, s49, 0
	v_mov_b32_e32 v6, v3
	s_and_b64 vcc, exec, s[0:1]
	v_mov_b32_e32 v2, 0
	s_cbranch_vccnz .LBB0_8
; %bb.1:
	s_load_dwordx2 s[0:1], s[4:5], 0x10
	s_add_u32 s6, s2, 8
	s_addc_u32 s7, s3, 0
	v_mov_b32_e32 v1, 0
	v_mov_b32_e32 v2, 0
	s_waitcnt lgkmcnt(0)
	s_add_u32 s14, s0, 8
	s_addc_u32 s15, s1, 0
	s_mov_b64 s[16:17], 1
.LBB0_2:                                ; =>This Inner Loop Header: Depth=1
	s_load_dwordx2 s[18:19], s[14:15], 0x0
                                        ; implicit-def: $vgpr7_vgpr8
	s_waitcnt lgkmcnt(0)
	v_or_b32_e32 v4, s19, v6
	v_cmp_ne_u64_e32 vcc, 0, v[3:4]
	s_and_saveexec_b64 s[0:1], vcc
	s_xor_b64 s[20:21], exec, s[0:1]
	s_cbranch_execz .LBB0_4
; %bb.3:                                ;   in Loop: Header=BB0_2 Depth=1
	v_cvt_f32_u32_e32 v4, s18
	v_cvt_f32_u32_e32 v7, s19
	s_sub_u32 s0, 0, s18
	s_subb_u32 s1, 0, s19
	v_mac_f32_e32 v4, 0x4f800000, v7
	v_rcp_f32_e32 v4, v4
	v_mul_f32_e32 v4, 0x5f7ffffc, v4
	v_mul_f32_e32 v7, 0x2f800000, v4
	v_trunc_f32_e32 v7, v7
	v_mac_f32_e32 v4, 0xcf800000, v7
	v_cvt_u32_f32_e32 v7, v7
	v_cvt_u32_f32_e32 v4, v4
	v_mul_lo_u32 v8, s0, v7
	v_mul_hi_u32 v9, s0, v4
	v_mul_lo_u32 v11, s1, v4
	v_mul_lo_u32 v10, s0, v4
	v_add_u32_e32 v8, v9, v8
	v_add_u32_e32 v8, v8, v11
	v_mul_hi_u32 v9, v4, v10
	v_mul_lo_u32 v11, v4, v8
	v_mul_hi_u32 v13, v4, v8
	v_mul_hi_u32 v12, v7, v10
	v_mul_lo_u32 v10, v7, v10
	v_mul_hi_u32 v14, v7, v8
	v_add_co_u32_e32 v9, vcc, v9, v11
	v_addc_co_u32_e32 v11, vcc, 0, v13, vcc
	v_mul_lo_u32 v8, v7, v8
	v_add_co_u32_e32 v9, vcc, v9, v10
	v_addc_co_u32_e32 v9, vcc, v11, v12, vcc
	v_addc_co_u32_e32 v10, vcc, 0, v14, vcc
	v_add_co_u32_e32 v8, vcc, v9, v8
	v_addc_co_u32_e32 v9, vcc, 0, v10, vcc
	v_add_co_u32_e32 v4, vcc, v4, v8
	v_addc_co_u32_e32 v7, vcc, v7, v9, vcc
	v_mul_lo_u32 v8, s0, v7
	v_mul_hi_u32 v9, s0, v4
	v_mul_lo_u32 v10, s1, v4
	v_mul_lo_u32 v11, s0, v4
	v_add_u32_e32 v8, v9, v8
	v_add_u32_e32 v8, v8, v10
	v_mul_lo_u32 v12, v4, v8
	v_mul_hi_u32 v13, v4, v11
	v_mul_hi_u32 v14, v4, v8
	v_mul_hi_u32 v10, v7, v11
	v_mul_lo_u32 v11, v7, v11
	v_mul_hi_u32 v9, v7, v8
	v_add_co_u32_e32 v12, vcc, v13, v12
	v_addc_co_u32_e32 v13, vcc, 0, v14, vcc
	v_mul_lo_u32 v8, v7, v8
	v_add_co_u32_e32 v11, vcc, v12, v11
	v_addc_co_u32_e32 v10, vcc, v13, v10, vcc
	v_addc_co_u32_e32 v9, vcc, 0, v9, vcc
	v_add_co_u32_e32 v8, vcc, v10, v8
	v_addc_co_u32_e32 v9, vcc, 0, v9, vcc
	v_add_co_u32_e32 v4, vcc, v4, v8
	v_addc_co_u32_e32 v9, vcc, v7, v9, vcc
	v_mad_u64_u32 v[7:8], s[0:1], v5, v9, 0
	v_mul_hi_u32 v10, v5, v4
	v_add_co_u32_e32 v11, vcc, v10, v7
	v_addc_co_u32_e32 v12, vcc, 0, v8, vcc
	v_mad_u64_u32 v[7:8], s[0:1], v6, v4, 0
	v_mad_u64_u32 v[9:10], s[0:1], v6, v9, 0
	v_add_co_u32_e32 v4, vcc, v11, v7
	v_addc_co_u32_e32 v4, vcc, v12, v8, vcc
	v_addc_co_u32_e32 v7, vcc, 0, v10, vcc
	v_add_co_u32_e32 v4, vcc, v4, v9
	v_addc_co_u32_e32 v9, vcc, 0, v7, vcc
	v_mul_lo_u32 v10, s19, v4
	v_mul_lo_u32 v11, s18, v9
	v_mad_u64_u32 v[7:8], s[0:1], s18, v4, 0
	v_add3_u32 v8, v8, v11, v10
	v_sub_u32_e32 v10, v6, v8
	v_mov_b32_e32 v11, s19
	v_sub_co_u32_e32 v7, vcc, v5, v7
	v_subb_co_u32_e64 v10, s[0:1], v10, v11, vcc
	v_subrev_co_u32_e64 v11, s[0:1], s18, v7
	v_subbrev_co_u32_e64 v10, s[0:1], 0, v10, s[0:1]
	v_cmp_le_u32_e64 s[0:1], s19, v10
	v_cndmask_b32_e64 v12, 0, -1, s[0:1]
	v_cmp_le_u32_e64 s[0:1], s18, v11
	v_cndmask_b32_e64 v11, 0, -1, s[0:1]
	v_cmp_eq_u32_e64 s[0:1], s19, v10
	v_cndmask_b32_e64 v10, v12, v11, s[0:1]
	v_add_co_u32_e64 v11, s[0:1], 2, v4
	v_addc_co_u32_e64 v12, s[0:1], 0, v9, s[0:1]
	v_add_co_u32_e64 v13, s[0:1], 1, v4
	v_addc_co_u32_e64 v14, s[0:1], 0, v9, s[0:1]
	v_subb_co_u32_e32 v8, vcc, v6, v8, vcc
	v_cmp_ne_u32_e64 s[0:1], 0, v10
	v_cmp_le_u32_e32 vcc, s19, v8
	v_cndmask_b32_e64 v10, v14, v12, s[0:1]
	v_cndmask_b32_e64 v12, 0, -1, vcc
	v_cmp_le_u32_e32 vcc, s18, v7
	v_cndmask_b32_e64 v7, 0, -1, vcc
	v_cmp_eq_u32_e32 vcc, s19, v8
	v_cndmask_b32_e32 v7, v12, v7, vcc
	v_cmp_ne_u32_e32 vcc, 0, v7
	v_cndmask_b32_e64 v7, v13, v11, s[0:1]
	v_cndmask_b32_e32 v8, v9, v10, vcc
	v_cndmask_b32_e32 v7, v4, v7, vcc
.LBB0_4:                                ;   in Loop: Header=BB0_2 Depth=1
	s_andn2_saveexec_b64 s[0:1], s[20:21]
	s_cbranch_execz .LBB0_6
; %bb.5:                                ;   in Loop: Header=BB0_2 Depth=1
	v_cvt_f32_u32_e32 v4, s18
	s_sub_i32 s20, 0, s18
	v_rcp_iflag_f32_e32 v4, v4
	v_mul_f32_e32 v4, 0x4f7ffffe, v4
	v_cvt_u32_f32_e32 v4, v4
	v_mul_lo_u32 v7, s20, v4
	v_mul_hi_u32 v7, v4, v7
	v_add_u32_e32 v4, v4, v7
	v_mul_hi_u32 v4, v5, v4
	v_mul_lo_u32 v7, v4, s18
	v_add_u32_e32 v8, 1, v4
	v_sub_u32_e32 v7, v5, v7
	v_subrev_u32_e32 v9, s18, v7
	v_cmp_le_u32_e32 vcc, s18, v7
	v_cndmask_b32_e32 v7, v7, v9, vcc
	v_cndmask_b32_e32 v4, v4, v8, vcc
	v_add_u32_e32 v8, 1, v4
	v_cmp_le_u32_e32 vcc, s18, v7
	v_cndmask_b32_e32 v7, v4, v8, vcc
	v_mov_b32_e32 v8, v3
.LBB0_6:                                ;   in Loop: Header=BB0_2 Depth=1
	s_or_b64 exec, exec, s[0:1]
	v_mul_lo_u32 v4, v8, s18
	v_mul_lo_u32 v11, v7, s19
	v_mad_u64_u32 v[9:10], s[0:1], v7, s18, 0
	s_load_dwordx2 s[0:1], s[6:7], 0x0
	s_add_u32 s16, s16, 1
	v_add3_u32 v4, v10, v11, v4
	v_sub_co_u32_e32 v5, vcc, v5, v9
	v_subb_co_u32_e32 v4, vcc, v6, v4, vcc
	s_waitcnt lgkmcnt(0)
	v_mul_lo_u32 v4, s0, v4
	v_mul_lo_u32 v6, s1, v5
	v_mad_u64_u32 v[1:2], s[0:1], s0, v5, v[1:2]
	s_addc_u32 s17, s17, 0
	s_add_u32 s6, s6, 8
	v_add3_u32 v2, v6, v2, v4
	v_mov_b32_e32 v4, s10
	v_mov_b32_e32 v5, s11
	s_addc_u32 s7, s7, 0
	v_cmp_ge_u64_e32 vcc, s[16:17], v[4:5]
	s_add_u32 s14, s14, 8
	s_addc_u32 s15, s15, 0
	s_cbranch_vccnz .LBB0_9
; %bb.7:                                ;   in Loop: Header=BB0_2 Depth=1
	v_mov_b32_e32 v5, v7
	v_mov_b32_e32 v6, v8
	s_branch .LBB0_2
.LBB0_8:
	v_mov_b32_e32 v8, v6
	v_mov_b32_e32 v7, v5
.LBB0_9:
	s_lshl_b64 s[0:1], s[10:11], 3
	s_add_u32 s0, s2, s0
	s_addc_u32 s1, s3, s1
	s_load_dwordx2 s[2:3], s[0:1], 0x0
	s_load_dwordx2 s[6:7], s[4:5], 0x20
                                        ; implicit-def: $vgpr61
                                        ; implicit-def: $vgpr65
                                        ; implicit-def: $vgpr64
                                        ; implicit-def: $vgpr63
                                        ; implicit-def: $vgpr60
	s_waitcnt lgkmcnt(0)
	v_mad_u64_u32 v[1:2], s[0:1], s2, v7, v[1:2]
	s_mov_b32 s0, 0x1681682
	v_mul_lo_u32 v3, s2, v8
	v_mul_lo_u32 v4, s3, v7
	v_mul_hi_u32 v5, v0, s0
	v_cmp_gt_u64_e64 s[0:1], s[6:7], v[7:8]
	v_cmp_le_u64_e32 vcc, s[6:7], v[7:8]
	v_add3_u32 v2, v4, v2, v3
	v_mul_u32_u24_e32 v3, 0xb6, v5
	v_sub_u32_e32 v56, v0, v3
	s_and_saveexec_b64 s[2:3], vcc
	s_xor_b64 s[2:3], exec, s[2:3]
; %bb.10:
	v_add_u32_e32 v61, 0xb6, v56
	v_add_u32_e32 v65, 0x16c, v56
	;; [unrolled: 1-line block ×5, first 2 shown]
; %bb.11:
	s_or_saveexec_b64 s[2:3], s[2:3]
	v_lshlrev_b64 v[0:1], 4, v[1:2]
	buffer_store_dword v0, off, s[48:51], 0 ; 4-byte Folded Spill
	s_nop 0
	buffer_store_dword v1, off, s[48:51], 0 offset:4 ; 4-byte Folded Spill
	s_xor_b64 exec, exec, s[2:3]
	s_cbranch_execz .LBB0_13
; %bb.12:
	buffer_load_dword v2, off, s[48:51], 0  ; 4-byte Folded Reload
	buffer_load_dword v3, off, s[48:51], 0 offset:4 ; 4-byte Folded Reload
	v_mov_b32_e32 v57, 0
	v_mov_b32_e32 v0, s13
	s_movk_i32 s4, 0x1000
	s_movk_i32 s5, 0x2000
	v_add_u32_e32 v61, 0xb6, v56
	v_add_u32_e32 v65, 0x16c, v56
	;; [unrolled: 1-line block ×5, first 2 shown]
	s_waitcnt vmcnt(1)
	v_add_co_u32_e32 v2, vcc, s12, v2
	s_waitcnt vmcnt(0)
	v_addc_co_u32_e32 v3, vcc, v0, v3, vcc
	v_lshlrev_b64 v[0:1], 4, v[56:57]
	v_add_co_u32_e32 v39, vcc, v2, v0
	v_addc_co_u32_e32 v40, vcc, v3, v1, vcc
	v_add_co_u32_e32 v16, vcc, s4, v39
	v_addc_co_u32_e32 v17, vcc, 0, v40, vcc
	;; [unrolled: 2-line block ×3, first 2 shown]
	s_movk_i32 s4, 0x3000
	v_add_co_u32_e32 v26, vcc, s4, v39
	s_movk_i32 s5, 0x4000
	v_addc_co_u32_e32 v27, vcc, 0, v40, vcc
	v_add_co_u32_e32 v32, vcc, s5, v39
	v_addc_co_u32_e32 v33, vcc, 0, v40, vcc
	s_movk_i32 s4, 0x5000
	v_add_co_u32_e32 v41, vcc, s4, v39
	v_addc_co_u32_e32 v42, vcc, 0, v40, vcc
	v_add_co_u32_e32 v43, vcc, 0x6000, v39
	v_addc_co_u32_e32 v44, vcc, 0, v40, vcc
	;; [unrolled: 2-line block ×3, first 2 shown]
	global_load_dwordx4 v[0:3], v[39:40], off
	global_load_dwordx4 v[4:7], v[39:40], off offset:2912
	global_load_dwordx4 v[8:11], v[16:17], off offset:1728
	;; [unrolled: 1-line block ×3, first 2 shown]
	s_nop 0
	global_load_dwordx4 v[16:19], v[24:25], off offset:3456
	global_load_dwordx4 v[20:23], v[26:27], off offset:2272
	s_nop 0
	global_load_dwordx4 v[24:27], v[32:33], off offset:1088
	global_load_dwordx4 v[28:31], v[32:33], off offset:4000
	;; [unrolled: 3-line block ×3, first 2 shown]
	v_lshl_add_u32 v44, v56, 4, 0
	global_load_dwordx4 v[40:43], v[45:46], off offset:448
	s_waitcnt vmcnt(10)
	ds_write_b128 v44, v[0:3]
	s_waitcnt vmcnt(9)
	ds_write_b128 v44, v[4:7] offset:2912
	s_waitcnt vmcnt(8)
	ds_write_b128 v44, v[8:11] offset:5824
	;; [unrolled: 2-line block ×10, first 2 shown]
.LBB0_13:
	s_or_b64 exec, exec, s[2:3]
	v_lshlrev_b32_e32 v57, 4, v56
	v_add_u32_e32 v254, 0, v57
	s_waitcnt vmcnt(0) lgkmcnt(0)
	s_barrier
	ds_read_b128 v[0:3], v254 offset:16016
	ds_read_b128 v[4:7], v254
	ds_read_b128 v[8:11], v254 offset:2912
	ds_read_b128 v[12:15], v254 offset:18928
	s_movk_i32 s2, 0x5b
	ds_read_b128 v[36:39], v254 offset:5824
	s_waitcnt lgkmcnt(3)
	v_add_f64 v[28:29], v[4:5], -v[0:1]
	v_add_f64 v[30:31], v[6:7], -v[2:3]
	s_waitcnt lgkmcnt(1)
	v_add_f64 v[20:21], v[8:9], -v[12:13]
	v_add_f64 v[22:23], v[10:11], -v[14:15]
	ds_read_b128 v[12:15], v254 offset:21840
	v_cmp_gt_u32_e32 vcc, s2, v56
	v_fma_f64 v[0:1], v[4:5], 2.0, -v[28:29]
	v_fma_f64 v[2:3], v[6:7], 2.0, -v[30:31]
	;; [unrolled: 1-line block ×4, first 2 shown]
	ds_read_b128 v[8:11], v254 offset:8736
	ds_read_b128 v[4:7], v254 offset:24752
	s_waitcnt lgkmcnt(2)
	v_add_f64 v[24:25], v[36:37], -v[12:13]
	v_add_f64 v[26:27], v[38:39], -v[14:15]
	ds_read_b128 v[12:15], v254 offset:27664
	ds_read_b128 v[48:51], v254 offset:11648
	ds_read_b128 v[52:55], v254 offset:14560
	ds_read_b128 v[40:43], v254 offset:30576
	s_waitcnt lgkmcnt(0)
	v_add_f64 v[16:17], v[8:9], -v[4:5]
	v_add_f64 v[18:19], v[10:11], -v[6:7]
	;; [unrolled: 1-line block ×6, first 2 shown]
	v_fma_f64 v[44:45], v[36:37], 2.0, -v[24:25]
	v_fma_f64 v[46:47], v[38:39], 2.0, -v[26:27]
	;; [unrolled: 1-line block ×8, first 2 shown]
	v_add_u32_e32 v48, v254, v57
	s_barrier
	ds_write_b128 v48, v[0:3]
	ds_write_b128 v48, v[28:31] offset:16
	v_lshl_add_u32 v48, v61, 5, 0
	ds_write_b128 v48, v[32:35]
	ds_write_b128 v48, v[20:23] offset:16
	v_lshl_add_u32 v48, v65, 5, 0
	;; [unrolled: 3-line block ×4, first 2 shown]
	ds_write_b128 v48, v[36:39]
	ds_write_b128 v48, v[12:15] offset:16
	s_and_saveexec_b64 s[2:3], vcc
	s_cbranch_execz .LBB0_15
; %bb.14:
	v_lshl_add_u32 v48, v60, 5, 0
	ds_write_b128 v48, v[8:11]
	ds_write_b128 v48, v[4:7] offset:16
.LBB0_15:
	s_or_b64 exec, exec, s[2:3]
	s_movk_i32 s2, 0x9a
	v_cmp_gt_u32_e64 s[2:3], s2, v56
	s_waitcnt lgkmcnt(0)
	s_barrier
	s_waitcnt lgkmcnt(0)
                                        ; implicit-def: $vgpr50_vgpr51
	s_and_saveexec_b64 s[4:5], s[2:3]
	s_cbranch_execz .LBB0_17
; %bb.16:
	ds_read_b128 v[0:3], v254
	ds_read_b128 v[28:31], v254 offset:2464
	ds_read_b128 v[32:35], v254 offset:4928
	;; [unrolled: 1-line block ×12, first 2 shown]
.LBB0_17:
	s_or_b64 exec, exec, s[4:5]
	v_and_b32_e32 v62, 1, v56
	v_mul_u32_u24_e32 v52, 12, v62
	v_lshlrev_b32_e32 v58, 4, v52
	global_load_dwordx4 v[66:69], v58, s[8:9]
	s_mov_b32 s16, 0x4267c47c
	s_mov_b32 s17, 0xbfddbe06
	;; [unrolled: 1-line block ×36, first 2 shown]
	s_waitcnt vmcnt(0) lgkmcnt(11)
	v_mul_f64 v[52:53], v[30:31], v[68:69]
	v_fma_f64 v[52:53], v[28:29], v[66:67], v[52:53]
	v_mul_f64 v[28:29], v[28:29], v[68:69]
	v_fma_f64 v[28:29], v[30:31], v[66:67], -v[28:29]
	global_load_dwordx4 v[66:69], v58, s[8:9] offset:16
	s_waitcnt vmcnt(0) lgkmcnt(10)
	v_mul_f64 v[30:31], v[34:35], v[68:69]
	v_fma_f64 v[30:31], v[32:33], v[66:67], v[30:31]
	v_mul_f64 v[32:33], v[32:33], v[68:69]
	v_fma_f64 v[32:33], v[34:35], v[66:67], -v[32:33]
	global_load_dwordx4 v[66:69], v58, s[8:9] offset:32
	;; [unrolled: 6-line block ×3, first 2 shown]
	s_waitcnt vmcnt(0) lgkmcnt(8)
	v_mul_f64 v[66:67], v[46:47], v[22:23]
	v_mul_f64 v[22:23], v[44:45], v[22:23]
	v_fma_f64 v[66:67], v[44:45], v[20:21], v[66:67]
	v_fma_f64 v[44:45], v[46:47], v[20:21], -v[22:23]
	global_load_dwordx4 v[20:23], v58, s[8:9] offset:64
	s_waitcnt vmcnt(0) lgkmcnt(7)
	v_mul_f64 v[46:47], v[26:27], v[22:23]
	v_mul_f64 v[22:23], v[24:25], v[22:23]
	v_fma_f64 v[46:47], v[24:25], v[20:21], v[46:47]
	v_fma_f64 v[68:69], v[26:27], v[20:21], -v[22:23]
	global_load_dwordx4 v[20:23], v58, s[8:9] offset:80
	;; [unrolled: 6-line block ×3, first 2 shown]
	s_waitcnt vmcnt(0) lgkmcnt(5)
	v_mul_f64 v[24:25], v[18:19], v[22:23]
	v_fma_f64 v[42:43], v[16:17], v[20:21], v[24:25]
	v_mul_f64 v[16:17], v[16:17], v[22:23]
	v_add_f64 v[156:157], v[70:71], v[42:43]
	v_fma_f64 v[72:73], v[18:19], v[20:21], -v[16:17]
	global_load_dwordx4 v[16:19], v58, s[8:9] offset:112
	v_add_f64 v[160:161], v[70:71], -v[42:43]
	s_waitcnt vmcnt(0) lgkmcnt(4)
	v_mul_f64 v[20:21], v[38:39], v[18:19]
	v_mul_f64 v[18:19], v[36:37], v[18:19]
	v_fma_f64 v[74:75], v[36:37], v[16:17], v[20:21]
	v_fma_f64 v[36:37], v[38:39], v[16:17], -v[18:19]
	global_load_dwordx4 v[16:19], v58, s[8:9] offset:128
	v_add_f64 v[124:125], v[46:47], v[74:75]
	v_add_f64 v[196:197], v[68:69], -v[36:37]
	v_add_f64 v[194:195], v[68:69], v[36:37]
	v_add_f64 v[126:127], v[46:47], -v[74:75]
	v_mul_f64 v[110:111], v[196:197], s[26:27]
	v_mul_f64 v[112:113], v[194:195], s[24:25]
	;; [unrolled: 1-line block ×10, first 2 shown]
	s_waitcnt vmcnt(0) lgkmcnt(3)
	v_mul_f64 v[20:21], v[14:15], v[18:19]
	v_fma_f64 v[38:39], v[12:13], v[16:17], v[20:21]
	v_mul_f64 v[12:13], v[12:13], v[18:19]
	v_add_f64 v[118:119], v[66:67], v[38:39]
	v_fma_f64 v[76:77], v[14:15], v[16:17], -v[12:13]
	global_load_dwordx4 v[12:15], v58, s[8:9] offset:144
	v_add_f64 v[120:121], v[66:67], -v[38:39]
	v_add_f64 v[188:189], v[44:45], -v[76:77]
	v_add_f64 v[186:187], v[44:45], v[76:77]
	v_mul_f64 v[98:99], v[188:189], s[22:23]
	v_mul_f64 v[100:101], v[186:187], s[20:21]
	;; [unrolled: 1-line block ×9, first 2 shown]
	s_waitcnt vmcnt(0) lgkmcnt(2)
	v_mul_f64 v[16:17], v[10:11], v[14:15]
	v_fma_f64 v[78:79], v[8:9], v[12:13], v[16:17]
	v_mul_f64 v[8:9], v[8:9], v[14:15]
	v_add_f64 v[114:115], v[34:35], v[78:79]
	v_fma_f64 v[80:81], v[10:11], v[12:13], -v[8:9]
	global_load_dwordx4 v[8:11], v58, s[8:9] offset:160
	v_add_f64 v[116:117], v[34:35], -v[78:79]
	v_add_f64 v[176:177], v[54:55], -v[80:81]
	v_add_f64 v[174:175], v[54:55], v[80:81]
	v_mul_f64 v[94:95], v[176:177], s[18:19]
	v_mul_f64 v[96:97], v[174:175], s[14:15]
	;; [unrolled: 1-line block ×9, first 2 shown]
	s_waitcnt vmcnt(0) lgkmcnt(1)
	v_mul_f64 v[12:13], v[6:7], v[10:11]
	v_fma_f64 v[82:83], v[4:5], v[8:9], v[12:13]
	v_mul_f64 v[4:5], v[4:5], v[10:11]
	v_add_f64 v[102:103], v[30:31], v[82:83]
	v_fma_f64 v[84:85], v[6:7], v[8:9], -v[4:5]
	global_load_dwordx4 v[4:7], v58, s[8:9] offset:176
	v_add_f64 v[104:105], v[30:31], -v[82:83]
	v_add_f64 v[58:59], v[40:41], -v[72:73]
	;; [unrolled: 1-line block ×3, first 2 shown]
	v_add_f64 v[146:147], v[32:33], v[84:85]
	v_mul_f64 v[122:123], v[58:59], s[28:29]
	v_mul_f64 v[140:141], v[58:59], s[34:35]
	;; [unrolled: 1-line block ×14, first 2 shown]
	v_fma_f64 v[10:11], v[102:103], s[20:21], -v[132:133]
	v_fma_f64 v[12:13], v[104:105], s[22:23], v[142:143]
	v_fma_f64 v[14:15], v[102:103], s[30:31], -v[162:163]
	v_fma_f64 v[16:17], v[104:105], s[28:29], v[192:193]
	;; [unrolled: 2-line block ×4, first 2 shown]
	v_mul_f64 v[148:149], v[148:149], s[34:35]
	v_mul_f64 v[252:253], v[146:147], s[4:5]
	v_fma_f64 v[248:249], v[102:103], s[4:5], -v[148:149]
	v_fma_f64 v[146:147], v[104:105], s[34:35], v[252:253]
	s_waitcnt vmcnt(0) lgkmcnt(0)
	v_mul_f64 v[8:9], v[48:49], v[6:7]
	v_mul_f64 v[6:7], v[50:51], v[6:7]
	v_fma_f64 v[86:87], v[50:51], v[4:5], -v[8:9]
	v_fma_f64 v[48:49], v[48:49], v[4:5], v[6:7]
	v_fma_f64 v[6:7], v[102:103], s[6:7], -v[88:89]
	v_fma_f64 v[8:9], v[104:105], s[10:11], v[90:91]
	v_add_f64 v[50:51], v[40:41], v[72:73]
	v_add_f64 v[24:25], v[28:29], -v[86:87]
	v_add_f64 v[106:107], v[52:53], v[48:49]
	v_add_f64 v[26:27], v[28:29], v[86:87]
	v_add_f64 v[108:109], v[52:53], -v[48:49]
	v_mul_f64 v[128:129], v[50:51], s[30:31]
	v_mul_f64 v[154:155], v[50:51], s[4:5]
	;; [unrolled: 1-line block ×5, first 2 shown]
	buffer_store_dword v4, off, s[48:51], 0 offset:8 ; 4-byte Folded Spill
	s_nop 0
	buffer_store_dword v5, off, s[48:51], 0 offset:12 ; 4-byte Folded Spill
	v_mul_f64 v[92:93], v[26:27], s[4:5]
	v_mul_f64 v[130:131], v[24:25], s[10:11]
	;; [unrolled: 1-line block ×10, first 2 shown]
	s_waitcnt vmcnt(0)
	s_barrier
	v_fma_f64 v[26:27], v[108:109], s[28:29], v[250:251]
	v_add_f64 v[26:27], v[2:3], v[26:27]
	v_add_f64 v[26:27], v[146:147], v[26:27]
	v_fma_f64 v[4:5], v[106:107], s[4:5], -v[4:5]
	v_add_f64 v[4:5], v[0:1], v[4:5]
	v_add_f64 v[4:5], v[6:7], v[4:5]
	v_fma_f64 v[6:7], v[108:109], s[16:17], v[92:93]
	v_add_f64 v[6:7], v[2:3], v[6:7]
	v_add_f64 v[6:7], v[8:9], v[6:7]
	v_fma_f64 v[8:9], v[114:115], s[14:15], -v[94:95]
	v_add_f64 v[4:5], v[8:9], v[4:5]
	v_fma_f64 v[8:9], v[116:117], s[18:19], v[96:97]
	v_add_f64 v[6:7], v[8:9], v[6:7]
	v_fma_f64 v[8:9], v[118:119], s[20:21], -v[98:99]
	v_add_f64 v[4:5], v[8:9], v[4:5]
	v_fma_f64 v[8:9], v[120:121], s[22:23], v[100:101]
	v_add_f64 v[6:7], v[8:9], v[6:7]
	v_fma_f64 v[8:9], v[124:125], s[24:25], -v[110:111]
	v_add_f64 v[4:5], v[8:9], v[4:5]
	v_fma_f64 v[8:9], v[126:127], s[26:27], v[112:113]
	v_add_f64 v[6:7], v[8:9], v[6:7]
	v_fma_f64 v[8:9], v[156:157], s[30:31], -v[122:123]
	v_add_f64 v[4:5], v[8:9], v[4:5]
	v_fma_f64 v[8:9], v[160:161], s[28:29], v[128:129]
	v_add_f64 v[6:7], v[8:9], v[6:7]
	v_fma_f64 v[8:9], v[106:107], s[6:7], -v[130:131]
	v_add_f64 v[8:9], v[0:1], v[8:9]
	v_add_f64 v[8:9], v[10:11], v[8:9]
	v_fma_f64 v[10:11], v[108:109], s[10:11], v[158:159]
	v_add_f64 v[10:11], v[2:3], v[10:11]
	v_add_f64 v[10:11], v[12:13], v[10:11]
	v_fma_f64 v[12:13], v[114:115], s[30:31], -v[134:135]
	v_add_f64 v[8:9], v[12:13], v[8:9]
	v_fma_f64 v[12:13], v[116:117], s[28:29], v[144:145]
	v_add_f64 v[10:11], v[12:13], v[10:11]
	v_fma_f64 v[12:13], v[118:119], s[24:25], -v[136:137]
	v_add_f64 v[8:9], v[12:13], v[8:9]
	v_fma_f64 v[12:13], v[120:121], s[38:39], v[150:151]
	v_add_f64 v[10:11], v[12:13], v[10:11]
	v_fma_f64 v[12:13], v[124:125], s[14:15], -v[138:139]
	v_add_f64 v[8:9], v[12:13], v[8:9]
	v_fma_f64 v[12:13], v[126:127], s[36:37], v[152:153]
	v_add_f64 v[10:11], v[12:13], v[10:11]
	v_fma_f64 v[12:13], v[156:157], s[4:5], -v[140:141]
	v_add_f64 v[8:9], v[12:13], v[8:9]
	v_fma_f64 v[12:13], v[160:161], s[34:35], v[154:155]
	;; [unrolled: 22-line block ×4, first 2 shown]
	v_add_f64 v[18:19], v[20:21], v[18:19]
	v_fma_f64 v[20:21], v[106:107], s[24:25], -v[234:235]
	v_add_f64 v[20:21], v[0:1], v[20:21]
	v_add_f64 v[20:21], v[22:23], v[20:21]
	v_fma_f64 v[22:23], v[108:109], s[26:27], v[242:243]
	v_add_f64 v[22:23], v[2:3], v[22:23]
	v_add_f64 v[22:23], v[224:225], v[22:23]
	v_mul_f64 v[224:225], v[176:177], s[10:11]
	v_mul_f64 v[176:177], v[176:177], s[26:27]
	v_fma_f64 v[226:227], v[114:115], s[6:7], -v[224:225]
	v_fma_f64 v[146:147], v[114:115], s[24:25], -v[176:177]
	v_add_f64 v[20:21], v[226:227], v[20:21]
	v_fma_f64 v[226:227], v[116:117], s[10:11], v[232:233]
	v_add_f64 v[22:23], v[226:227], v[22:23]
	v_mul_f64 v[226:227], v[188:189], s[44:45]
	v_fma_f64 v[228:229], v[118:119], s[30:31], -v[226:227]
	v_add_f64 v[20:21], v[228:229], v[20:21]
	v_fma_f64 v[228:229], v[120:121], s[44:45], v[236:237]
	v_add_f64 v[22:23], v[228:229], v[22:23]
	v_mul_f64 v[228:229], v[196:197], s[34:35]
	;; [unrolled: 5-line block ×3, first 2 shown]
	v_fma_f64 v[240:241], v[156:157], s[20:21], -v[230:231]
	v_add_f64 v[20:21], v[240:241], v[20:21]
	v_mul_f64 v[240:241], v[50:51], s[20:21]
	v_fma_f64 v[246:247], v[160:161], s[22:23], v[240:241]
	v_add_f64 v[22:23], v[246:247], v[22:23]
	v_mul_f64 v[246:247], v[24:25], s[28:29]
	v_fma_f64 v[24:25], v[106:107], s[30:31], -v[246:247]
	v_add_f64 v[24:25], v[0:1], v[24:25]
	v_add_f64 v[24:25], v[248:249], v[24:25]
	v_mul_f64 v[248:249], v[174:175], s[24:25]
	v_add_f64 v[24:25], v[146:147], v[24:25]
	v_fma_f64 v[146:147], v[116:117], s[26:27], v[248:249]
	v_add_f64 v[26:27], v[146:147], v[26:27]
	v_mul_f64 v[146:147], v[188:189], s[46:47]
	v_mul_f64 v[188:189], v[186:187], s[6:7]
	v_fma_f64 v[174:175], v[118:119], s[6:7], -v[146:147]
	v_add_f64 v[24:25], v[174:175], v[24:25]
	v_fma_f64 v[174:175], v[120:121], s[46:47], v[188:189]
	v_add_f64 v[26:27], v[174:175], v[26:27]
	v_mul_f64 v[174:175], v[196:197], s[22:23]
	v_mul_f64 v[196:197], v[50:51], s[14:15]
	v_fma_f64 v[186:187], v[124:125], s[20:21], -v[174:175]
	v_add_f64 v[24:25], v[186:187], v[24:25]
	v_fma_f64 v[186:187], v[126:127], s[22:23], v[194:195]
	v_add_f64 v[26:27], v[186:187], v[26:27]
	v_mul_f64 v[186:187], v[58:59], s[36:37]
	v_fma_f64 v[50:51], v[156:157], s[14:15], -v[186:187]
	v_add_f64 v[24:25], v[50:51], v[24:25]
	v_fma_f64 v[50:51], v[160:161], s[36:37], v[196:197]
	v_add_f64 v[26:27], v[50:51], v[26:27]
	s_and_saveexec_b64 s[40:41], s[2:3]
	s_cbranch_execz .LBB0_19
; %bb.18:
	v_mul_f64 v[50:51], v[160:161], s[36:37]
	v_mul_f64 v[58:59], v[126:127], s[22:23]
	v_add_f64 v[28:29], v[2:3], v[28:29]
	v_add_f64 v[52:53], v[0:1], v[52:53]
	v_add_f64 v[50:51], v[196:197], -v[50:51]
	v_add_f64 v[58:59], v[194:195], -v[58:59]
	v_mul_f64 v[194:195], v[120:121], s[46:47]
	v_mul_f64 v[196:197], v[108:109], s[28:29]
	v_add_f64 v[28:29], v[28:29], v[32:33]
	v_add_f64 v[30:31], v[52:53], v[30:31]
	v_add_f64 v[188:189], v[188:189], -v[194:195]
	v_mul_f64 v[194:195], v[104:105], s[34:35]
	v_add_f64 v[196:197], v[250:251], -v[196:197]
	v_mul_f64 v[250:251], v[106:107], s[30:31]
	v_add_f64 v[28:29], v[28:29], v[54:55]
	v_add_f64 v[30:31], v[30:31], v[34:35]
	v_add_f64 v[194:195], v[252:253], -v[194:195]
	v_add_f64 v[196:197], v[2:3], v[196:197]
	v_add_f64 v[246:247], v[250:251], v[246:247]
	v_mul_f64 v[250:251], v[102:103], s[4:5]
	v_add_f64 v[28:29], v[28:29], v[44:45]
	v_add_f64 v[30:31], v[30:31], v[66:67]
	;; [unrolled: 1-line block ×5, first 2 shown]
	v_mul_f64 v[250:251], v[116:117], s[26:27]
	v_mul_f64 v[246:247], v[104:105], s[36:37]
	v_add_f64 v[28:29], v[28:29], v[68:69]
	v_add_f64 v[30:31], v[30:31], v[46:47]
	v_add_f64 v[148:149], v[148:149], v[196:197]
	v_add_f64 v[248:249], v[248:249], -v[250:251]
	v_mul_f64 v[250:251], v[114:115], s[24:25]
	v_mul_f64 v[196:197], v[118:119], s[6:7]
	v_add_f64 v[244:245], v[244:245], -v[246:247]
	v_mul_f64 v[246:247], v[106:107], s[4:5]
	v_add_f64 v[28:29], v[28:29], v[40:41]
	buffer_load_dword v40, off, s[48:51], 0 offset:8 ; 4-byte Folded Reload
	buffer_load_dword v41, off, s[48:51], 0 offset:12 ; 4-byte Folded Reload
	v_add_f64 v[30:31], v[30:31], v[70:71]
	v_add_f64 v[194:195], v[248:249], v[194:195]
	;; [unrolled: 1-line block ×4, first 2 shown]
	v_mul_f64 v[196:197], v[124:125], s[20:21]
	v_mul_f64 v[248:249], v[116:117], s[42:43]
	;; [unrolled: 1-line block ×3, first 2 shown]
	v_add_f64 v[28:29], v[28:29], v[72:73]
	v_add_f64 v[30:31], v[30:31], v[42:43]
	;; [unrolled: 1-line block ×4, first 2 shown]
	v_mul_f64 v[176:177], v[106:107], s[24:25]
	v_add_f64 v[174:175], v[196:197], v[174:175]
	v_mul_f64 v[196:197], v[108:109], s[26:27]
	v_mul_f64 v[194:195], v[108:109], s[16:17]
	v_add_f64 v[186:187], v[250:251], v[186:187]
	v_mul_f64 v[250:251], v[120:121], s[38:39]
	v_add_f64 v[58:59], v[58:59], v[188:189]
	;; [unrolled: 2-line block ×3, first 2 shown]
	v_mul_f64 v[234:235], v[116:117], s[10:11]
	v_add_f64 v[196:197], v[242:243], -v[196:197]
	v_mul_f64 v[242:243], v[102:103], s[14:15]
	v_add_f64 v[146:147], v[146:147], v[148:149]
	v_mul_f64 v[148:149], v[106:107], s[6:7]
	v_add_f64 v[68:69], v[92:93], -v[194:195]
	v_add_f64 v[188:189], v[188:189], v[224:225]
	v_add_f64 v[176:177], v[0:1], v[176:177]
	v_add_f64 v[232:233], v[232:233], -v[234:235]
	v_add_f64 v[196:197], v[2:3], v[196:197]
	v_add_f64 v[222:223], v[242:243], v[222:223]
	v_mul_f64 v[234:235], v[120:121], s[44:45]
	v_mul_f64 v[224:225], v[118:119], s[30:31]
	;; [unrolled: 1-line block ×3, first 2 shown]
	v_add_f64 v[146:147], v[174:175], v[146:147]
	v_mul_f64 v[174:175], v[106:107], s[14:15]
	v_mul_f64 v[106:107], v[106:107], s[20:21]
	v_add_f64 v[196:197], v[244:245], v[196:197]
	v_add_f64 v[176:177], v[222:223], v[176:177]
	v_mul_f64 v[222:223], v[126:127], s[34:35]
	v_mul_f64 v[244:245], v[108:109], s[18:19]
	v_mul_f64 v[108:109], v[108:109], s[22:23]
	v_add_f64 v[234:235], v[236:237], -v[234:235]
	v_add_f64 v[224:225], v[224:225], v[226:227]
	v_mul_f64 v[226:227], v[124:125], s[4:5]
	v_add_f64 v[196:197], v[232:233], v[196:197]
	v_add_f64 v[176:177], v[188:189], v[176:177]
	v_add_f64 v[188:189], v[238:239], -v[222:223]
	v_mul_f64 v[222:223], v[160:161], s[22:23]
	v_mul_f64 v[232:233], v[104:105], s[10:11]
	v_add_f64 v[108:109], v[216:217], -v[108:109]
	v_mul_f64 v[236:237], v[102:103], s[6:7]
	v_add_f64 v[226:227], v[226:227], v[228:229]
	v_add_f64 v[196:197], v[234:235], v[196:197]
	v_mul_f64 v[234:235], v[104:105], s[22:23]
	v_add_f64 v[176:177], v[224:225], v[176:177]
	v_add_f64 v[222:223], v[240:241], -v[222:223]
	v_mul_f64 v[240:241], v[104:105], s[28:29]
	v_mul_f64 v[104:105], v[104:105], s[38:39]
	;; [unrolled: 1-line block ×6, first 2 shown]
	v_add_f64 v[176:177], v[226:227], v[176:177]
	v_mul_f64 v[226:227], v[160:161], s[46:47]
	v_add_f64 v[106:107], v[106:107], v[208:209]
	v_add_f64 v[104:105], v[218:219], -v[104:105]
	v_mul_f64 v[208:209], v[116:117], s[34:35]
	v_add_f64 v[108:109], v[2:3], v[108:109]
	v_add_f64 v[188:189], v[188:189], v[196:197]
	v_mul_f64 v[196:197], v[114:115], s[14:15]
	v_add_f64 v[228:229], v[228:229], v[230:231]
	v_mul_f64 v[230:231], v[116:117], s[18:19]
	v_mul_f64 v[216:217], v[114:115], s[30:31]
	;; [unrolled: 1-line block ×3, first 2 shown]
	v_add_f64 v[220:221], v[220:221], -v[226:227]
	v_mul_f64 v[226:227], v[114:115], s[20:21]
	v_mul_f64 v[114:115], v[114:115], s[4:5]
	v_add_f64 v[102:103], v[102:103], v[206:207]
	v_add_f64 v[106:107], v[0:1], v[106:107]
	v_add_f64 v[116:117], v[212:213], -v[208:209]
	v_mul_f64 v[206:207], v[120:121], s[18:19]
	v_add_f64 v[108:109], v[104:105], v[108:109]
	v_mul_f64 v[208:209], v[118:119], s[20:21]
	v_add_f64 v[104:105], v[50:51], v[58:59]
	v_add_f64 v[114:115], v[114:115], v[210:211]
	v_mul_f64 v[210:211], v[118:119], s[24:25]
	v_add_f64 v[106:107], v[102:103], v[106:107]
	v_mul_f64 v[50:51], v[126:127], s[44:45]
	v_add_f64 v[206:207], v[214:215], -v[206:207]
	v_mul_f64 v[214:215], v[118:119], s[4:5]
	v_mul_f64 v[118:119], v[118:119], s[14:15]
	v_add_f64 v[108:109], v[116:117], v[108:109]
	v_add_f64 v[190:191], v[190:191], -v[244:245]
	v_mul_f64 v[212:213], v[120:121], s[22:23]
	v_add_f64 v[106:107], v[114:115], v[106:107]
	v_add_f64 v[50:51], v[204:205], -v[50:51]
	v_mul_f64 v[120:121], v[120:121], s[34:35]
	v_add_f64 v[164:165], v[174:175], v[164:165]
	v_add_f64 v[116:117], v[118:119], v[200:201]
	v_mul_f64 v[118:119], v[124:125], s[30:31]
	v_add_f64 v[108:109], v[206:207], v[108:109]
	v_add_f64 v[190:191], v[2:3], v[190:191]
	v_add_f64 v[142:143], v[142:143], -v[234:235]
	v_add_f64 v[102:103], v[186:187], v[146:147]
	v_mul_f64 v[146:147], v[126:127], s[26:27]
	v_mul_f64 v[200:201], v[126:127], s[36:37]
	v_add_f64 v[106:107], v[116:117], v[106:107]
	v_add_f64 v[114:115], v[118:119], v[202:203]
	v_mul_f64 v[116:117], v[156:157], s[6:7]
	v_add_f64 v[50:51], v[50:51], v[108:109]
	v_add_f64 v[108:109], v[222:223], v[188:189]
	v_mul_f64 v[126:127], v[126:127], s[10:11]
	v_add_f64 v[32:33], v[180:181], -v[120:121]
	v_add_f64 v[52:53], v[224:225], v[162:163]
	v_add_f64 v[120:121], v[0:1], v[164:165]
	;; [unrolled: 1-line block ×5, first 2 shown]
	v_add_f64 v[176:177], v[192:193], -v[240:241]
	v_add_f64 v[116:117], v[220:221], v[50:51]
	v_add_f64 v[50:51], v[158:159], -v[242:243]
	v_add_f64 v[158:159], v[172:173], -v[248:249]
	;; [unrolled: 1-line block ×4, first 2 shown]
	v_add_f64 v[52:53], v[52:53], v[120:121]
	v_add_f64 v[120:121], v[150:151], -v[250:251]
	v_add_f64 v[172:173], v[176:177], v[190:191]
	s_waitcnt vmcnt(0)
	v_add_f64 v[40:41], v[246:247], v[40:41]
	v_add_f64 v[50:51], v[2:3], v[50:51]
	v_add_f64 v[90:91], v[90:91], -v[232:233]
	v_add_f64 v[2:3], v[2:3], v[68:69]
	v_add_f64 v[68:69], v[236:237], v[88:89]
	;; [unrolled: 1-line block ×17, first 2 shown]
	v_mul_f64 v[58:59], v[124:125], s[24:25]
	v_add_f64 v[68:69], v[100:101], -v[212:213]
	v_mul_f64 v[186:187], v[124:125], s[14:15]
	v_add_f64 v[32:33], v[34:35], v[32:33]
	v_add_f64 v[34:35], v[152:153], -v[200:201]
	v_add_f64 v[50:51], v[120:121], v[50:51]
	v_add_f64 v[36:37], v[72:73], v[36:37]
	;; [unrolled: 1-line block ×3, first 2 shown]
	v_mul_f64 v[124:125], v[124:125], s[6:7]
	v_add_f64 v[66:67], v[214:215], v[168:169]
	v_add_f64 v[52:53], v[54:55], v[52:53]
	;; [unrolled: 1-line block ×6, first 2 shown]
	v_mul_f64 v[204:205], v[156:157], s[30:31]
	v_mul_f64 v[118:119], v[160:161], s[28:29]
	;; [unrolled: 1-line block ×4, first 2 shown]
	v_add_f64 v[58:59], v[58:59], v[110:111]
	v_mul_f64 v[202:203], v[156:157], s[4:5]
	v_add_f64 v[38:39], v[186:187], v[138:139]
	v_add_f64 v[0:1], v[0:1], v[50:51]
	v_add_f64 v[50:51], v[96:97], -v[230:231]
	v_mul_f64 v[156:157], v[156:157], s[24:25]
	v_add_f64 v[54:55], v[124:125], v[170:171]
	v_add_f64 v[52:53], v[66:67], v[52:53]
	;; [unrolled: 1-line block ×3, first 2 shown]
	v_add_f64 v[44:45], v[182:183], -v[160:161]
	v_add_f64 v[66:67], v[154:155], -v[206:207]
	v_add_f64 v[0:1], v[70:71], v[0:1]
	v_add_f64 v[2:3], v[50:51], v[2:3]
	;; [unrolled: 1-line block ×9, first 2 shown]
	v_add_f64 v[42:43], v[112:113], -v[146:147]
	v_add_f64 v[2:3], v[68:69], v[2:3]
	v_add_f64 v[36:37], v[50:51], v[36:37]
	v_add_f64 v[50:51], v[128:129], -v[118:119]
	v_add_f64 v[68:69], v[204:205], v[122:123]
	v_add_f64 v[0:1], v[40:41], v[0:1]
	;; [unrolled: 1-line block ×13, first 2 shown]
	v_lshrrev_b32_e32 v40, 1, v56
	v_mul_u32_u24_e32 v40, 26, v40
	v_or_b32_e32 v40, v40, v62
	v_lshl_add_u32 v40, v40, 4, 0
	ds_write_b128 v40, v[36:39]
	ds_write_b128 v40, v[32:35] offset:32
	ds_write_b128 v40, v[28:31] offset:64
	ds_write_b128 v40, v[0:3] offset:96
	ds_write_b128 v40, v[114:117] offset:128
	ds_write_b128 v40, v[106:109] offset:160
	ds_write_b128 v40, v[102:105] offset:192
	ds_write_b128 v40, v[24:27] offset:224
	ds_write_b128 v40, v[20:23] offset:256
	ds_write_b128 v40, v[16:19] offset:288
	ds_write_b128 v40, v[12:15] offset:320
	ds_write_b128 v40, v[8:11] offset:352
	ds_write_b128 v40, v[4:7] offset:384
.LBB0_19:
	s_or_b64 exec, exec, s[40:41]
	s_waitcnt lgkmcnt(0)
	s_barrier
	ds_read_b128 v[28:31], v254
	ds_read_b128 v[48:51], v254 offset:4576
	ds_read_b128 v[44:47], v254 offset:9152
	ds_read_b128 v[36:39], v254 offset:13728
	ds_read_b128 v[32:35], v254 offset:18304
	ds_read_b128 v[40:43], v254 offset:22880
	ds_read_b128 v[52:55], v254 offset:27456
	s_movk_i32 s2, 0x68
	v_cmp_gt_u32_e64 s[2:3], s2, v56
	v_lshl_add_u32 v67, v61, 4, 0
                                        ; implicit-def: $vgpr2_vgpr3
	s_and_saveexec_b64 s[4:5], s[2:3]
	s_cbranch_execz .LBB0_21
; %bb.20:
	ds_read_b128 v[24:27], v67
	ds_read_b128 v[20:23], v254 offset:7488
	ds_read_b128 v[16:19], v254 offset:12064
	;; [unrolled: 1-line block ×6, first 2 shown]
.LBB0_21:
	s_or_b64 exec, exec, s[4:5]
	s_movk_i32 s4, 0x4f
	v_mul_lo_u16_sdwa v58, v56, s4 dst_sel:DWORD dst_unused:UNUSED_PAD src0_sel:BYTE_0 src1_sel:DWORD
	v_lshrrev_b16_e32 v58, 11, v58
	v_mul_lo_u16_e32 v59, 26, v58
	v_sub_u16_e32 v59, v56, v59
	v_mov_b32_e32 v62, 6
	v_mul_u32_u24_sdwa v62, v59, v62 dst_sel:DWORD dst_unused:UNUSED_PAD src0_sel:BYTE_0 src1_sel:DWORD
	v_lshlrev_b32_e32 v62, 4, v62
	global_load_dwordx4 v[68:71], v62, s[8:9] offset:384
	global_load_dwordx4 v[72:75], v62, s[8:9] offset:400
	;; [unrolled: 1-line block ×6, first 2 shown]
	v_mov_b32_e32 v62, 4
	v_mul_u32_u24_e32 v58, 0xb60, v58
	v_lshlrev_b32_sdwa v59, v62, v59 dst_sel:DWORD dst_unused:UNUSED_PAD src0_sel:DWORD src1_sel:BYTE_0
	v_add3_u32 v62, 0, v58, v59
	s_mov_b32 s4, 0x37e14327
	s_mov_b32 s6, 0x36b3c0b5
	;; [unrolled: 1-line block ×20, first 2 shown]
	s_waitcnt vmcnt(0) lgkmcnt(0)
	s_barrier
	v_mul_f64 v[58:59], v[50:51], v[70:71]
	v_mul_f64 v[70:71], v[48:49], v[70:71]
	;; [unrolled: 1-line block ×12, first 2 shown]
	v_fma_f64 v[48:49], v[48:49], v[68:69], v[58:59]
	v_fma_f64 v[50:51], v[50:51], v[68:69], -v[70:71]
	v_fma_f64 v[44:45], v[44:45], v[72:73], v[92:93]
	v_fma_f64 v[46:47], v[46:47], v[72:73], -v[74:75]
	;; [unrolled: 2-line block ×6, first 2 shown]
	v_add_f64 v[58:59], v[48:49], v[52:53]
	v_add_f64 v[68:69], v[50:51], v[54:55]
	v_add_f64 v[48:49], v[48:49], -v[52:53]
	v_add_f64 v[50:51], v[50:51], -v[54:55]
	v_add_f64 v[52:53], v[44:45], v[40:41]
	v_add_f64 v[54:55], v[46:47], v[42:43]
	v_add_f64 v[40:41], v[44:45], -v[40:41]
	v_add_f64 v[42:43], v[46:47], -v[42:43]
	;; [unrolled: 4-line block ×4, first 2 shown]
	v_add_f64 v[58:59], v[58:59], -v[44:45]
	v_add_f64 v[68:69], v[68:69], -v[46:47]
	;; [unrolled: 1-line block ×4, first 2 shown]
	v_add_f64 v[74:75], v[32:33], v[40:41]
	v_add_f64 v[76:77], v[34:35], v[42:43]
	v_add_f64 v[78:79], v[32:33], -v[40:41]
	v_add_f64 v[80:81], v[34:35], -v[42:43]
	v_add_f64 v[36:37], v[44:45], v[36:37]
	v_add_f64 v[38:39], v[46:47], v[38:39]
	v_add_f64 v[40:41], v[40:41], -v[48:49]
	v_add_f64 v[42:43], v[42:43], -v[50:51]
	;; [unrolled: 1-line block ×4, first 2 shown]
	v_add_f64 v[44:45], v[74:75], v[48:49]
	v_add_f64 v[46:47], v[76:77], v[50:51]
	v_mul_f64 v[48:49], v[58:59], s[4:5]
	v_mul_f64 v[50:51], v[68:69], s[4:5]
	;; [unrolled: 1-line block ×6, first 2 shown]
	v_add_f64 v[28:29], v[28:29], v[36:37]
	v_add_f64 v[30:31], v[30:31], v[38:39]
	v_mul_f64 v[78:79], v[40:41], s[10:11]
	v_mul_f64 v[80:81], v[42:43], s[10:11]
	v_fma_f64 v[52:53], v[52:53], s[6:7], v[48:49]
	v_fma_f64 v[54:55], v[54:55], s[6:7], v[50:51]
	v_fma_f64 v[58:59], v[70:71], s[18:19], -v[58:59]
	v_fma_f64 v[68:69], v[72:73], s[18:19], -v[68:69]
	;; [unrolled: 1-line block ×4, first 2 shown]
	v_fma_f64 v[70:71], v[32:33], s[22:23], v[74:75]
	v_fma_f64 v[72:73], v[34:35], s[22:23], v[76:77]
	;; [unrolled: 1-line block ×4, first 2 shown]
	v_fma_f64 v[32:33], v[32:33], s[26:27], -v[78:79]
	v_fma_f64 v[34:35], v[34:35], s[26:27], -v[80:81]
	v_fma_f64 v[40:41], v[40:41], s[10:11], -v[74:75]
	v_fma_f64 v[42:43], v[42:43], s[10:11], -v[76:77]
	v_fma_f64 v[70:71], v[44:45], s[24:25], v[70:71]
	v_fma_f64 v[72:73], v[46:47], s[24:25], v[72:73]
	v_add_f64 v[52:53], v[52:53], v[36:37]
	v_add_f64 v[54:55], v[54:55], v[38:39]
	v_fma_f64 v[78:79], v[44:45], s[24:25], v[32:33]
	v_fma_f64 v[80:81], v[46:47], s[24:25], v[34:35]
	v_add_f64 v[48:49], v[48:49], v[36:37]
	v_add_f64 v[50:51], v[50:51], v[38:39]
	;; [unrolled: 4-line block ×3, first 2 shown]
	v_add_f64 v[32:33], v[72:73], v[52:53]
	v_add_f64 v[34:35], v[54:55], -v[70:71]
	v_add_f64 v[36:37], v[80:81], v[48:49]
	v_add_f64 v[38:39], v[50:51], -v[78:79]
	v_add_f64 v[48:49], v[48:49], -v[80:81]
	v_add_f64 v[50:51], v[78:79], v[50:51]
	v_add_f64 v[40:41], v[44:45], -v[76:77]
	v_add_f64 v[42:43], v[74:75], v[46:47]
	v_add_f64 v[44:45], v[76:77], v[44:45]
	v_add_f64 v[46:47], v[46:47], -v[74:75]
	v_add_f64 v[52:53], v[52:53], -v[72:73]
	v_add_f64 v[54:55], v[70:71], v[54:55]
	ds_write_b128 v62, v[28:31]
	ds_write_b128 v62, v[32:35] offset:416
	ds_write_b128 v62, v[36:39] offset:832
	;; [unrolled: 1-line block ×6, first 2 shown]
	s_and_saveexec_b64 s[28:29], s[2:3]
	s_cbranch_execz .LBB0_23
; %bb.22:
	s_movk_i32 s2, 0x4ec5
	v_mul_u32_u24_sdwa v28, v61, s2 dst_sel:DWORD dst_unused:UNUSED_PAD src0_sel:WORD_0 src1_sel:DWORD
	v_lshrrev_b32_e32 v52, 19, v28
	v_mul_lo_u16_e32 v28, 26, v52
	v_sub_u16_e32 v62, v61, v28
	v_mul_u32_u24_e32 v28, 6, v62
	v_lshlrev_b32_e32 v53, 4, v28
	global_load_dwordx4 v[28:31], v53, s[8:9] offset:432
	global_load_dwordx4 v[32:35], v53, s[8:9] offset:416
	;; [unrolled: 1-line block ×6, first 2 shown]
	v_mul_lo_u16_e32 v66, 0xb6, v52
	s_waitcnt vmcnt(5)
	v_mul_f64 v[52:53], v[10:11], v[30:31]
	s_waitcnt vmcnt(4)
	v_mul_f64 v[54:55], v[14:15], v[34:35]
	;; [unrolled: 2-line block ×6, first 2 shown]
	v_mul_f64 v[38:39], v[16:17], v[38:39]
	v_mul_f64 v[42:43], v[4:5], v[42:43]
	;; [unrolled: 1-line block ×6, first 2 shown]
	v_fma_f64 v[16:17], v[16:17], v[36:37], v[58:59]
	v_fma_f64 v[4:5], v[4:5], v[40:41], v[68:69]
	;; [unrolled: 1-line block ×4, first 2 shown]
	v_fma_f64 v[18:19], v[18:19], v[36:37], -v[38:39]
	v_fma_f64 v[6:7], v[6:7], v[40:41], -v[42:43]
	;; [unrolled: 1-line block ×4, first 2 shown]
	v_fma_f64 v[8:9], v[8:9], v[28:29], v[52:53]
	v_fma_f64 v[12:13], v[12:13], v[32:33], v[54:55]
	v_fma_f64 v[14:15], v[14:15], v[32:33], -v[34:35]
	v_fma_f64 v[10:11], v[10:11], v[28:29], -v[30:31]
	v_add_f64 v[30:31], v[16:17], -v[4:5]
	v_add_f64 v[32:33], v[20:21], -v[0:1]
	v_add_f64 v[36:37], v[18:19], v[6:7]
	v_add_f64 v[38:39], v[22:23], v[2:3]
	;; [unrolled: 1-line block ×4, first 2 shown]
	v_add_f64 v[28:29], v[8:9], -v[12:13]
	v_add_f64 v[34:35], v[14:15], v[10:11]
	v_add_f64 v[8:9], v[12:13], v[8:9]
	v_add_f64 v[10:11], v[10:11], -v[14:15]
	v_add_f64 v[6:7], v[18:19], -v[6:7]
	;; [unrolled: 1-line block ×3, first 2 shown]
	v_add_f64 v[22:23], v[36:37], v[38:39]
	v_add_f64 v[42:43], v[4:5], v[0:1]
	;; [unrolled: 1-line block ×3, first 2 shown]
	v_add_f64 v[14:15], v[28:29], -v[30:31]
	v_add_f64 v[16:17], v[32:33], -v[28:29]
	;; [unrolled: 1-line block ×5, first 2 shown]
	v_add_f64 v[44:45], v[10:11], v[6:7]
	v_add_f64 v[46:47], v[10:11], -v[6:7]
	v_add_f64 v[22:23], v[34:35], v[22:23]
	v_add_f64 v[8:9], v[8:9], v[42:43]
	v_add_f64 v[18:19], v[34:35], -v[36:37]
	v_add_f64 v[30:31], v[30:31], -v[32:33]
	;; [unrolled: 1-line block ×6, first 2 shown]
	v_mul_f64 v[14:15], v[14:15], s[16:17]
	v_mul_f64 v[20:21], v[20:21], s[4:5]
	;; [unrolled: 1-line block ×3, first 2 shown]
	v_add_f64 v[40:41], v[44:45], v[2:3]
	v_mul_f64 v[42:43], v[46:47], s[16:17]
	v_add_f64 v[2:3], v[26:27], v[22:23]
	v_add_f64 v[0:1], v[24:25], v[8:9]
	v_add_f64 v[12:13], v[12:13], v[32:33]
	v_mul_f64 v[32:33], v[18:19], s[6:7]
	v_mul_f64 v[44:45], v[30:31], s[10:11]
	;; [unrolled: 1-line block ×4, first 2 shown]
	v_fma_f64 v[48:49], v[16:17], s[22:23], v[14:15]
	v_fma_f64 v[18:19], v[18:19], s[6:7], v[20:21]
	;; [unrolled: 1-line block ×6, first 2 shown]
	v_fma_f64 v[16:17], v[16:17], s[26:27], -v[44:45]
	v_fma_f64 v[20:21], v[36:37], s[20:21], -v[20:21]
	v_fma_f64 v[28:29], v[4:5], s[20:21], -v[38:39]
	v_fma_f64 v[10:11], v[10:11], s[26:27], -v[46:47]
	v_fma_f64 v[32:33], v[36:37], s[18:19], -v[32:33]
	v_fma_f64 v[14:15], v[30:31], s[10:11], -v[14:15]
	v_fma_f64 v[6:7], v[6:7], s[10:11], -v[42:43]
	v_fma_f64 v[4:5], v[4:5], s[18:19], -v[34:35]
	v_fma_f64 v[30:31], v[12:13], s[24:25], v[48:49]
	v_fma_f64 v[34:35], v[40:41], s[24:25], v[24:25]
	v_add_f64 v[24:25], v[18:19], v[22:23]
	v_add_f64 v[38:39], v[26:27], v[8:9]
	v_fma_f64 v[16:17], v[12:13], s[24:25], v[16:17]
	v_add_f64 v[20:21], v[20:21], v[22:23]
	v_add_f64 v[18:19], v[32:33], v[22:23]
	v_fma_f64 v[32:33], v[40:41], s[24:25], v[10:11]
	v_add_f64 v[28:29], v[28:29], v[8:9]
	v_fma_f64 v[12:13], v[12:13], s[24:25], v[14:15]
	v_fma_f64 v[36:37], v[40:41], s[24:25], v[6:7]
	v_add_f64 v[4:5], v[4:5], v[8:9]
	v_add_f64 v[6:7], v[30:31], v[24:25]
	v_add_f64 v[26:27], v[24:25], -v[30:31]
	v_add_f64 v[24:25], v[34:35], v[38:39]
	v_add_f64 v[10:11], v[16:17], v[20:21]
	v_add_f64 v[22:23], v[20:21], -v[16:17]
	v_add_f64 v[20:21], v[32:33], v[28:29]
	v_add_f64 v[14:15], v[18:19], -v[12:13]
	;; [unrolled: 2-line block ×4, first 2 shown]
	v_lshlrev_b32_e32 v50, 4, v66
	v_lshlrev_b32_e32 v51, 4, v62
	v_add_f64 v[4:5], v[38:39], -v[34:35]
	v_add3_u32 v28, 0, v51, v50
	ds_write_b128 v28, v[0:3]
	ds_write_b128 v28, v[24:27] offset:416
	ds_write_b128 v28, v[20:23] offset:832
	;; [unrolled: 1-line block ×6, first 2 shown]
.LBB0_23:
	s_or_b64 exec, exec, s[28:29]
	v_mul_u32_u24_e32 v0, 10, v56
	v_lshlrev_b32_e32 v8, 4, v0
	s_waitcnt lgkmcnt(0)
	s_barrier
	global_load_dwordx4 v[0:3], v8, s[8:9] offset:2880
	global_load_dwordx4 v[4:7], v8, s[8:9] offset:2896
	;; [unrolled: 1-line block ×10, first 2 shown]
	ds_read_b128 v[46:49], v67
	v_lshl_add_u32 v13, v65, 4, 0
	v_lshl_add_u32 v12, v64, 4, 0
	;; [unrolled: 1-line block ×4, first 2 shown]
	ds_read_b128 v[50:53], v254
	ds_read_b128 v[68:71], v254 offset:17472
	ds_read_b128 v[72:75], v254 offset:20384
	;; [unrolled: 1-line block ×5, first 2 shown]
	ds_read_b128 v[88:91], v13
	ds_read_b128 v[92:95], v12
	;; [unrolled: 1-line block ×4, first 2 shown]
	s_mov_b32 s22, 0xf8bb580b
	s_mov_b32 s23, 0xbfe14ced
	;; [unrolled: 1-line block ×30, first 2 shown]
	s_waitcnt vmcnt(0) lgkmcnt(0)
	s_barrier
	v_mul_f64 v[8:9], v[48:49], v[2:3]
	v_mul_f64 v[2:3], v[46:47], v[2:3]
	;; [unrolled: 1-line block ×16, first 2 shown]
	v_fma_f64 v[8:9], v[46:47], v[0:1], v[8:9]
	v_fma_f64 v[0:1], v[48:49], v[0:1], -v[2:3]
	v_fma_f64 v[46:47], v[88:89], v[4:5], v[54:55]
	v_fma_f64 v[2:3], v[90:91], v[4:5], -v[6:7]
	v_fma_f64 v[6:7], v[94:95], v[14:15], -v[16:17]
	;; [unrolled: 1-line block ×7, first 2 shown]
	v_add_f64 v[44:45], v[50:51], v[8:9]
	v_fma_f64 v[4:5], v[92:93], v[14:15], v[58:59]
	v_fma_f64 v[14:15], v[96:97], v[18:19], v[104:105]
	v_add_f64 v[48:49], v[52:53], v[0:1]
	v_mul_f64 v[112:113], v[78:79], v[36:37]
	v_mul_f64 v[36:37], v[76:77], v[36:37]
	;; [unrolled: 1-line block ×4, first 2 shown]
	v_add_f64 v[44:45], v[44:45], v[46:47]
	v_fma_f64 v[18:19], v[100:101], v[22:23], v[106:107]
	v_fma_f64 v[22:23], v[68:69], v[26:27], v[108:109]
	v_add_f64 v[48:49], v[48:49], v[2:3]
	v_fma_f64 v[26:27], v[72:73], v[30:31], v[110:111]
	v_fma_f64 v[30:31], v[84:85], v[42:43], v[116:117]
	;; [unrolled: 1-line block ×3, first 2 shown]
	v_fma_f64 v[34:35], v[78:79], v[34:35], -v[36:37]
	v_add_f64 v[44:45], v[44:45], v[4:5]
	v_fma_f64 v[36:37], v[80:81], v[38:39], v[114:115]
	v_fma_f64 v[38:39], v[82:83], v[38:39], -v[40:41]
	v_add_f64 v[54:55], v[0:1], -v[32:33]
	v_add_f64 v[48:49], v[48:49], v[6:7]
	v_add_f64 v[40:41], v[8:9], v[30:31]
	v_add_f64 v[0:1], v[0:1], v[32:33]
	v_add_f64 v[8:9], v[8:9], -v[30:31]
	v_add_f64 v[44:45], v[44:45], v[14:15]
	v_add_f64 v[58:59], v[46:47], v[36:37]
	;; [unrolled: 1-line block ×3, first 2 shown]
	v_add_f64 v[70:71], v[2:3], -v[38:39]
	v_mul_f64 v[2:3], v[54:55], s[22:23]
	v_add_f64 v[48:49], v[48:49], v[16:17]
	v_mul_f64 v[72:73], v[0:1], s[16:17]
	v_mul_f64 v[76:77], v[0:1], s[4:5]
	v_add_f64 v[44:45], v[44:45], v[18:19]
	v_mul_f64 v[80:81], v[0:1], s[14:15]
	v_mul_f64 v[84:85], v[0:1], s[26:27]
	;; [unrolled: 1-line block ×3, first 2 shown]
	v_fma_f64 v[0:1], v[40:41], s[16:17], v[2:3]
	v_add_f64 v[48:49], v[48:49], v[20:21]
	v_mul_f64 v[74:75], v[54:55], s[2:3]
	v_mul_f64 v[78:79], v[54:55], s[6:7]
	v_add_f64 v[44:45], v[44:45], v[22:23]
	v_mul_f64 v[82:83], v[54:55], s[24:25]
	v_mul_f64 v[54:55], v[54:55], s[30:31]
	v_fma_f64 v[2:3], v[40:41], s[16:17], -v[2:3]
	v_add_f64 v[106:107], v[50:51], v[0:1]
	v_add_f64 v[48:49], v[48:49], v[24:25]
	v_fma_f64 v[92:93], v[8:9], s[10:11], v[76:77]
	v_fma_f64 v[96:97], v[8:9], s[18:19], v[80:81]
	v_add_f64 v[44:45], v[44:45], v[26:27]
	v_fma_f64 v[88:89], v[8:9], s[20:21], v[72:73]
	v_fma_f64 v[72:73], v[8:9], s[22:23], v[72:73]
	;; [unrolled: 1-line block ×3, first 2 shown]
	v_fma_f64 v[74:75], v[40:41], s[4:5], -v[74:75]
	v_add_f64 v[48:49], v[48:49], v[28:29]
	v_fma_f64 v[76:77], v[8:9], s[2:3], v[76:77]
	v_fma_f64 v[94:95], v[40:41], s[14:15], v[78:79]
	v_add_f64 v[0:1], v[44:45], v[42:43]
	v_fma_f64 v[78:79], v[40:41], s[14:15], -v[78:79]
	v_fma_f64 v[80:81], v[8:9], s[6:7], v[80:81]
	v_fma_f64 v[98:99], v[40:41], s[26:27], v[82:83]
	;; [unrolled: 1-line block ×3, first 2 shown]
	v_fma_f64 v[82:83], v[40:41], s[26:27], -v[82:83]
	v_fma_f64 v[84:85], v[8:9], s[24:25], v[84:85]
	v_fma_f64 v[102:103], v[40:41], s[34:35], v[54:55]
	v_add_f64 v[0:1], v[0:1], v[36:37]
	v_fma_f64 v[104:105], v[8:9], s[36:37], v[86:87]
	v_add_f64 v[108:109], v[50:51], v[2:3]
	v_add_f64 v[2:3], v[48:49], v[34:35]
	;; [unrolled: 1-line block ×4, first 2 shown]
	v_fma_f64 v[40:41], v[40:41], s[34:35], -v[54:55]
	v_fma_f64 v[8:9], v[8:9], s[30:31], v[86:87]
	v_add_f64 v[0:1], v[0:1], v[30:31]
	v_add_f64 v[30:31], v[46:47], -v[36:37]
	v_mul_f64 v[36:37], v[68:69], s[4:5]
	v_mul_f64 v[86:87], v[70:71], s[24:25]
	;; [unrolled: 1-line block ×3, first 2 shown]
	v_add_f64 v[88:89], v[52:53], v[88:89]
	v_add_f64 v[72:73], v[52:53], v[72:73]
	;; [unrolled: 1-line block ×15, first 2 shown]
	v_fma_f64 v[100:101], v[30:31], s[10:11], v[36:37]
	v_add_f64 v[40:41], v[50:51], v[40:41]
	v_add_f64 v[8:9], v[52:53], v[8:9]
	v_fma_f64 v[50:51], v[58:59], s[26:27], v[86:87]
	v_fma_f64 v[52:53], v[30:31], s[28:29], v[96:97]
	v_mul_f64 v[102:103], v[68:69], s[34:35]
	v_fma_f64 v[36:37], v[30:31], s[2:3], v[36:37]
	v_mul_f64 v[104:105], v[68:69], s[14:15]
	v_add_f64 v[88:89], v[100:101], v[88:89]
	v_mul_f64 v[100:101], v[70:71], s[36:37]
	v_mul_f64 v[68:69], v[68:69], s[16:17]
	v_add_f64 v[44:45], v[50:51], v[44:45]
	v_add_f64 v[48:49], v[52:53], v[48:49]
	v_fma_f64 v[50:51], v[58:59], s[26:27], -v[86:87]
	v_fma_f64 v[52:53], v[30:31], s[24:25], v[96:97]
	v_fma_f64 v[86:87], v[30:31], s[30:31], v[102:103]
	v_mul_f64 v[96:97], v[70:71], s[18:19]
	v_add_f64 v[36:37], v[36:37], v[72:73]
	v_fma_f64 v[72:73], v[58:59], s[34:35], v[100:101]
	v_add_f64 v[2:3], v[2:3], v[32:33]
	v_mul_f64 v[32:33], v[70:71], s[2:3]
	v_add_f64 v[50:51], v[50:51], v[74:75]
	v_add_f64 v[52:53], v[52:53], v[76:77]
	;; [unrolled: 1-line block ×3, first 2 shown]
	v_fma_f64 v[76:77], v[58:59], s[14:15], v[96:97]
	v_fma_f64 v[86:87], v[30:31], s[6:7], v[104:105]
	v_add_f64 v[72:73], v[72:73], v[90:91]
	v_fma_f64 v[90:91], v[58:59], s[14:15], -v[96:97]
	v_fma_f64 v[92:93], v[30:31], s[18:19], v[104:105]
	v_mul_f64 v[70:71], v[70:71], s[20:21]
	v_fma_f64 v[98:99], v[58:59], s[4:5], v[32:33]
	v_fma_f64 v[32:33], v[58:59], s[4:5], -v[32:33]
	v_add_f64 v[76:77], v[76:77], v[80:81]
	v_add_f64 v[80:81], v[86:87], v[94:95]
	v_add_f64 v[86:87], v[6:7], -v[34:35]
	v_add_f64 v[6:7], v[6:7], v[34:35]
	v_add_f64 v[34:35], v[90:91], v[82:83]
	;; [unrolled: 1-line block ×3, first 2 shown]
	v_fma_f64 v[90:91], v[30:31], s[22:23], v[68:69]
	v_add_f64 v[92:93], v[4:5], v[42:43]
	v_add_f64 v[4:5], v[4:5], -v[42:43]
	v_fma_f64 v[100:101], v[58:59], s[34:35], -v[100:101]
	v_fma_f64 v[102:103], v[30:31], s[36:37], v[102:103]
	v_mul_f64 v[94:95], v[6:7], s[14:15]
	v_fma_f64 v[84:85], v[58:59], s[16:17], v[70:71]
	v_mul_f64 v[42:43], v[86:87], s[6:7]
	v_fma_f64 v[58:59], v[58:59], s[16:17], -v[70:71]
	v_fma_f64 v[30:31], v[30:31], s[20:21], v[68:69]
	v_add_f64 v[54:55], v[90:91], v[54:55]
	v_mul_f64 v[68:69], v[86:87], s[36:37]
	v_mul_f64 v[70:71], v[6:7], s[34:35]
	v_fma_f64 v[90:91], v[4:5], s[18:19], v[94:95]
	v_add_f64 v[32:33], v[32:33], v[108:109]
	v_add_f64 v[46:47], v[84:85], v[46:47]
	v_fma_f64 v[84:85], v[92:93], s[14:15], v[42:43]
	v_add_f64 v[40:41], v[58:59], v[40:41]
	v_add_f64 v[8:9], v[30:31], v[8:9]
	v_fma_f64 v[30:31], v[92:93], s[14:15], -v[42:43]
	v_fma_f64 v[42:43], v[4:5], s[6:7], v[94:95]
	v_fma_f64 v[58:59], v[92:93], s[34:35], v[68:69]
	;; [unrolled: 1-line block ×3, first 2 shown]
	v_add_f64 v[88:89], v[90:91], v[88:89]
	v_mul_f64 v[90:91], v[86:87], s[10:11]
	v_mul_f64 v[96:97], v[6:7], s[4:5]
	v_add_f64 v[78:79], v[102:103], v[78:79]
	v_add_f64 v[30:31], v[30:31], v[32:33]
	v_add_f64 v[32:33], v[42:43], v[36:37]
	v_add_f64 v[36:37], v[58:59], v[44:45]
	v_add_f64 v[42:43], v[94:95], v[48:49]
	v_fma_f64 v[44:45], v[92:93], s[34:35], -v[68:69]
	v_fma_f64 v[48:49], v[4:5], s[36:37], v[70:71]
	v_fma_f64 v[58:59], v[92:93], s[4:5], v[90:91]
	v_mul_f64 v[70:71], v[86:87], s[22:23]
	v_fma_f64 v[68:69], v[4:5], s[2:3], v[96:97]
	v_mul_f64 v[94:95], v[6:7], s[16:17]
	;; [unrolled: 2-line block ×3, first 2 shown]
	v_add_f64 v[44:45], v[44:45], v[50:51]
	v_add_f64 v[48:49], v[48:49], v[52:53]
	;; [unrolled: 1-line block ×3, first 2 shown]
	v_fma_f64 v[58:59], v[92:93], s[16:17], v[70:71]
	v_add_f64 v[52:53], v[68:69], v[74:75]
	v_fma_f64 v[68:69], v[4:5], s[20:21], v[94:95]
	v_add_f64 v[72:73], v[96:97], v[78:79]
	v_mul_f64 v[74:75], v[86:87], s[24:25]
	v_fma_f64 v[70:71], v[92:93], s[16:17], -v[70:71]
	v_fma_f64 v[78:79], v[4:5], s[22:23], v[94:95]
	v_add_f64 v[98:99], v[98:99], v[106:107]
	v_add_f64 v[58:59], v[58:59], v[76:77]
	v_add_f64 v[76:77], v[16:17], -v[28:29]
	v_add_f64 v[16:17], v[16:17], v[28:29]
	v_add_f64 v[68:69], v[68:69], v[80:81]
	v_fma_f64 v[28:29], v[92:93], s[26:27], v[74:75]
	v_fma_f64 v[80:81], v[4:5], s[28:29], v[6:7]
	v_add_f64 v[34:35], v[70:71], v[34:35]
	v_add_f64 v[70:71], v[78:79], v[82:83]
	;; [unrolled: 1-line block ×3, first 2 shown]
	v_add_f64 v[14:15], v[14:15], -v[26:27]
	v_mul_f64 v[26:27], v[76:77], s[24:25]
	v_mul_f64 v[82:83], v[16:17], s[26:27]
	v_add_f64 v[28:29], v[28:29], v[46:47]
	v_add_f64 v[46:47], v[80:81], v[54:55]
	v_fma_f64 v[54:55], v[92:93], s[26:27], -v[74:75]
	v_fma_f64 v[4:5], v[4:5], s[24:25], v[6:7]
	v_mul_f64 v[6:7], v[76:77], s[18:19]
	v_mul_f64 v[74:75], v[16:17], s[14:15]
	v_fma_f64 v[80:81], v[78:79], s[26:27], v[26:27]
	v_fma_f64 v[86:87], v[14:15], s[28:29], v[82:83]
	v_fma_f64 v[26:27], v[78:79], s[26:27], -v[26:27]
	v_fma_f64 v[82:83], v[14:15], s[24:25], v[82:83]
	v_add_f64 v[38:39], v[100:101], v[38:39]
	v_add_f64 v[84:85], v[84:85], v[98:99]
	v_fma_f64 v[90:91], v[92:93], s[4:5], -v[90:91]
	v_add_f64 v[40:41], v[54:55], v[40:41]
	v_add_f64 v[4:5], v[4:5], v[8:9]
	v_fma_f64 v[8:9], v[78:79], s[14:15], v[6:7]
	v_add_f64 v[26:27], v[26:27], v[30:31]
	v_add_f64 v[30:31], v[82:83], v[32:33]
	v_mul_f64 v[32:33], v[76:77], s[22:23]
	v_mul_f64 v[82:83], v[16:17], s[16:17]
	v_fma_f64 v[54:55], v[14:15], s[6:7], v[74:75]
	v_add_f64 v[38:39], v[90:91], v[38:39]
	v_add_f64 v[80:81], v[80:81], v[84:85]
	;; [unrolled: 1-line block ×3, first 2 shown]
	v_fma_f64 v[6:7], v[78:79], s[14:15], -v[6:7]
	v_fma_f64 v[74:75], v[14:15], s[18:19], v[74:75]
	v_fma_f64 v[86:87], v[78:79], s[16:17], v[32:33]
	;; [unrolled: 1-line block ×3, first 2 shown]
	v_fma_f64 v[32:33], v[78:79], s[16:17], -v[32:33]
	v_fma_f64 v[82:83], v[14:15], s[22:23], v[82:83]
	v_add_f64 v[8:9], v[8:9], v[36:37]
	v_add_f64 v[36:37], v[54:55], v[42:43]
	v_mul_f64 v[54:55], v[16:17], s[34:35]
	v_mul_f64 v[42:43], v[76:77], s[30:31]
	v_add_f64 v[44:45], v[6:7], v[44:45]
	v_add_f64 v[48:49], v[74:75], v[48:49]
	v_add_f64 v[32:33], v[32:33], v[38:39]
	v_add_f64 v[38:39], v[82:83], v[72:73]
	v_add_f64 v[72:73], v[20:21], -v[24:25]
	v_add_f64 v[74:75], v[20:21], v[24:25]
	v_mul_f64 v[6:7], v[76:77], s[10:11]
	v_mul_f64 v[16:17], v[16:17], s[4:5]
	v_fma_f64 v[24:25], v[14:15], s[30:31], v[54:55]
	v_fma_f64 v[90:91], v[78:79], s[34:35], v[42:43]
	;; [unrolled: 1-line block ×3, first 2 shown]
	v_fma_f64 v[20:21], v[78:79], s[34:35], -v[42:43]
	v_add_f64 v[42:43], v[18:19], v[22:23]
	v_add_f64 v[54:55], v[18:19], -v[22:23]
	v_mul_f64 v[18:19], v[72:73], s[30:31]
	v_mul_f64 v[22:23], v[74:75], s[34:35]
	v_fma_f64 v[76:77], v[78:79], s[4:5], v[6:7]
	v_fma_f64 v[82:83], v[14:15], s[2:3], v[16:17]
	v_add_f64 v[70:71], v[24:25], v[70:71]
	v_fma_f64 v[14:15], v[14:15], s[10:11], v[16:17]
	v_mul_f64 v[24:25], v[72:73], s[20:21]
	v_add_f64 v[50:51], v[86:87], v[50:51]
	v_add_f64 v[86:87], v[20:21], v[34:35]
	v_fma_f64 v[6:7], v[78:79], s[4:5], -v[6:7]
	v_fma_f64 v[16:17], v[42:43], s[34:35], v[18:19]
	v_fma_f64 v[20:21], v[54:55], s[36:37], v[22:23]
	v_add_f64 v[76:77], v[76:77], v[28:29]
	v_mul_f64 v[28:29], v[74:75], s[16:17]
	v_add_f64 v[46:47], v[82:83], v[46:47]
	v_add_f64 v[82:83], v[14:15], v[4:5]
	v_fma_f64 v[14:15], v[42:43], s[34:35], -v[18:19]
	v_fma_f64 v[18:19], v[42:43], s[16:17], v[24:25]
	v_mul_f64 v[34:35], v[72:73], s[24:25]
	v_add_f64 v[78:79], v[6:7], v[40:41]
	v_add_f64 v[4:5], v[16:17], v[80:81]
	;; [unrolled: 1-line block ×3, first 2 shown]
	v_fma_f64 v[16:17], v[54:55], s[30:31], v[22:23]
	v_fma_f64 v[20:21], v[54:55], s[22:23], v[28:29]
	v_mul_f64 v[40:41], v[74:75], s[26:27]
	v_fma_f64 v[22:23], v[42:43], s[16:17], -v[24:25]
	v_add_f64 v[18:19], v[18:19], v[8:9]
	v_fma_f64 v[8:9], v[42:43], s[26:27], v[34:35]
	v_fma_f64 v[24:25], v[54:55], s[20:21], v[28:29]
	v_add_f64 v[52:53], v[88:89], v[52:53]
	v_add_f64 v[16:17], v[16:17], v[30:31]
	;; [unrolled: 1-line block ×3, first 2 shown]
	v_fma_f64 v[28:29], v[54:55], s[28:29], v[40:41]
	v_fma_f64 v[30:31], v[42:43], s[26:27], -v[34:35]
	v_fma_f64 v[34:35], v[54:55], s[24:25], v[40:41]
	v_mul_f64 v[36:37], v[72:73], s[10:11]
	v_mul_f64 v[40:41], v[74:75], s[4:5]
	v_add_f64 v[14:15], v[14:15], v[26:27]
	v_add_f64 v[22:23], v[22:23], v[44:45]
	;; [unrolled: 1-line block ×3, first 2 shown]
	v_mul_f64 v[8:9], v[72:73], s[6:7]
	v_mul_f64 v[44:45], v[74:75], s[14:15]
	v_add_f64 v[58:59], v[90:91], v[58:59]
	v_add_f64 v[68:69], v[92:93], v[68:69]
	;; [unrolled: 1-line block ×4, first 2 shown]
	v_fma_f64 v[34:35], v[42:43], s[4:5], v[36:37]
	v_fma_f64 v[38:39], v[54:55], s[2:3], v[40:41]
	v_add_f64 v[28:29], v[28:29], v[52:53]
	v_fma_f64 v[50:51], v[42:43], s[14:15], v[8:9]
	v_fma_f64 v[52:53], v[54:55], s[18:19], v[44:45]
	v_add_f64 v[24:25], v[24:25], v[48:49]
	v_fma_f64 v[48:49], v[42:43], s[4:5], -v[36:37]
	v_fma_f64 v[40:41], v[54:55], s[10:11], v[40:41]
	v_fma_f64 v[8:9], v[42:43], s[14:15], -v[8:9]
	v_fma_f64 v[54:55], v[54:55], s[6:7], v[44:45]
	v_add_f64 v[34:35], v[34:35], v[58:59]
	v_add_f64 v[36:37], v[38:39], v[68:69]
	;; [unrolled: 1-line block ×8, first 2 shown]
	ds_write_b128 v254, v[0:3]
	ds_write_b128 v254, v[4:7] offset:2912
	ds_write_b128 v254, v[18:21] offset:5824
	;; [unrolled: 1-line block ×10, first 2 shown]
	s_waitcnt lgkmcnt(0)
	s_barrier
	ds_read_b128 v[4:7], v254
	s_add_u32 s6, s8, 0x7d00
	s_addc_u32 s7, s9, 0
	v_sub_u32_e32 v14, 0, v57
	v_cmp_ne_u32_e64 s[2:3], 0, v56
                                        ; implicit-def: $vgpr2_vgpr3
                                        ; implicit-def: $vgpr8_vgpr9
	s_and_saveexec_b64 s[4:5], s[2:3]
	s_xor_b64 s[4:5], exec, s[4:5]
	s_cbranch_execz .LBB0_25
; %bb.24:
	v_mov_b32_e32 v57, 0
	v_lshlrev_b64 v[0:1], 4, v[56:57]
	v_mov_b32_e32 v2, s7
	v_add_co_u32_e64 v0, s[2:3], s6, v0
	v_addc_co_u32_e64 v1, s[2:3], v2, v1, s[2:3]
	global_load_dwordx4 v[15:18], v[0:1], off
	ds_read_b128 v[0:3], v14 offset:32032
	s_waitcnt lgkmcnt(0)
	v_add_f64 v[8:9], v[4:5], -v[0:1]
	v_add_f64 v[19:20], v[6:7], v[2:3]
	v_add_f64 v[2:3], v[6:7], -v[2:3]
	v_add_f64 v[0:1], v[4:5], v[0:1]
	v_mul_f64 v[6:7], v[8:9], 0.5
	v_mul_f64 v[4:5], v[19:20], 0.5
	;; [unrolled: 1-line block ×3, first 2 shown]
	s_waitcnt vmcnt(0)
	v_mul_f64 v[8:9], v[6:7], v[17:18]
	v_fma_f64 v[19:20], v[4:5], v[17:18], v[2:3]
	v_fma_f64 v[2:3], v[4:5], v[17:18], -v[2:3]
	v_fma_f64 v[21:22], v[0:1], 0.5, v[8:9]
	v_fma_f64 v[0:1], v[0:1], 0.5, -v[8:9]
	v_fma_f64 v[8:9], -v[15:16], v[6:7], v[19:20]
	v_fma_f64 v[2:3], -v[15:16], v[6:7], v[2:3]
	v_fma_f64 v[17:18], v[4:5], v[15:16], v[21:22]
	v_fma_f64 v[0:1], -v[4:5], v[15:16], v[0:1]
                                        ; implicit-def: $vgpr4_vgpr5
	ds_write_b64 v254, v[17:18]
.LBB0_25:
	s_andn2_saveexec_b64 s[2:3], s[4:5]
	s_cbranch_execz .LBB0_27
; %bb.26:
	s_waitcnt lgkmcnt(0)
	v_add_f64 v[2:3], v[4:5], v[6:7]
	v_mov_b32_e32 v17, 0
	ds_read_b64 v[15:16], v17 offset:16024
	v_add_f64 v[0:1], v[4:5], -v[6:7]
	v_mov_b32_e32 v8, 0
	v_mov_b32_e32 v9, 0
	s_waitcnt lgkmcnt(0)
	v_xor_b32_e32 v16, 0x80000000, v16
	ds_write_b64 v17, v[15:16] offset:16024
	ds_write_b64 v254, v[2:3]
	v_mov_b32_e32 v2, v8
	v_mov_b32_e32 v3, v9
.LBB0_27:
	s_or_b64 exec, exec, s[2:3]
	v_mov_b32_e32 v62, 0
	s_waitcnt lgkmcnt(0)
	v_lshlrev_b64 v[4:5], 4, v[61:62]
	v_mov_b32_e32 v6, s7
	v_add_co_u32_e64 v4, s[2:3], s6, v4
	v_addc_co_u32_e64 v5, s[2:3], v6, v5, s[2:3]
	global_load_dwordx4 v[4:7], v[4:5], off
	v_mov_b32_e32 v66, v62
	v_lshlrev_b64 v[15:16], 4, v[65:66]
	v_mov_b32_e32 v17, s7
	v_add_co_u32_e64 v15, s[2:3], s6, v15
	v_addc_co_u32_e64 v16, s[2:3], v17, v16, s[2:3]
	global_load_dwordx4 v[15:18], v[15:16], off
	ds_write_b64 v254, v[8:9] offset:8
	ds_write_b128 v14, v[0:3] offset:32032
	ds_read_b128 v[0:3], v67
	ds_read_b128 v[19:22], v14 offset:29120
	v_mov_b32_e32 v65, v62
	v_mov_b32_e32 v31, s7
	s_waitcnt lgkmcnt(0)
	v_add_f64 v[8:9], v[0:1], -v[19:20]
	v_add_f64 v[23:24], v[2:3], v[21:22]
	v_add_f64 v[2:3], v[2:3], -v[21:22]
	v_add_f64 v[0:1], v[0:1], v[19:20]
	v_lshlrev_b64 v[19:20], 4, v[64:65]
	v_mov_b32_e32 v64, v62
	v_mul_f64 v[21:22], v[8:9], 0.5
	v_mul_f64 v[23:24], v[23:24], 0.5
	v_mul_f64 v[2:3], v[2:3], 0.5
	s_waitcnt vmcnt(1)
	v_mul_f64 v[8:9], v[21:22], v[6:7]
	v_fma_f64 v[25:26], v[23:24], v[6:7], v[2:3]
	v_fma_f64 v[6:7], v[23:24], v[6:7], -v[2:3]
	v_fma_f64 v[27:28], v[0:1], 0.5, v[8:9]
	v_fma_f64 v[29:30], v[0:1], 0.5, -v[8:9]
	v_add_co_u32_e64 v0, s[2:3], s6, v19
	v_addc_co_u32_e64 v1, s[2:3], v31, v20, s[2:3]
	global_load_dwordx4 v[0:3], v[0:1], off
	v_fma_f64 v[8:9], -v[4:5], v[21:22], v[25:26]
	v_fma_f64 v[21:22], -v[4:5], v[21:22], v[6:7]
	v_fma_f64 v[6:7], v[23:24], v[4:5], v[27:28]
	v_fma_f64 v[19:20], -v[23:24], v[4:5], v[29:30]
	ds_write_b128 v67, v[6:9]
	ds_write_b128 v14, v[19:22] offset:29120
	ds_read_b128 v[4:7], v13
	ds_read_b128 v[19:22], v14 offset:26208
	s_waitcnt lgkmcnt(0)
	v_add_f64 v[8:9], v[4:5], -v[19:20]
	v_add_f64 v[23:24], v[6:7], v[21:22]
	v_add_f64 v[6:7], v[6:7], -v[21:22]
	v_add_f64 v[4:5], v[4:5], v[19:20]
	v_mul_f64 v[8:9], v[8:9], 0.5
	v_mul_f64 v[21:22], v[23:24], 0.5
	;; [unrolled: 1-line block ×3, first 2 shown]
	v_lshlrev_b64 v[23:24], 4, v[63:64]
	s_waitcnt vmcnt(1)
	v_mul_f64 v[19:20], v[8:9], v[17:18]
	v_fma_f64 v[25:26], v[21:22], v[17:18], v[6:7]
	v_fma_f64 v[17:18], v[21:22], v[17:18], -v[6:7]
	v_fma_f64 v[27:28], v[4:5], 0.5, v[19:20]
	v_fma_f64 v[29:30], v[4:5], 0.5, -v[19:20]
	v_add_co_u32_e64 v4, s[2:3], s6, v23
	v_addc_co_u32_e64 v5, s[2:3], v31, v24, s[2:3]
	global_load_dwordx4 v[4:7], v[4:5], off
	v_fma_f64 v[19:20], -v[15:16], v[8:9], v[25:26]
	v_fma_f64 v[23:24], -v[15:16], v[8:9], v[17:18]
	v_fma_f64 v[17:18], v[21:22], v[15:16], v[27:28]
	v_fma_f64 v[21:22], -v[21:22], v[15:16], v[29:30]
	ds_write_b128 v13, v[17:20]
	ds_write_b128 v14, v[21:24] offset:26208
	ds_read_b128 v[15:18], v12
	ds_read_b128 v[19:22], v14 offset:23296
	s_waitcnt lgkmcnt(0)
	v_add_f64 v[8:9], v[15:16], -v[19:20]
	v_add_f64 v[23:24], v[17:18], v[21:22]
	v_add_f64 v[17:18], v[17:18], -v[21:22]
	v_add_f64 v[15:16], v[15:16], v[19:20]
	v_mul_f64 v[8:9], v[8:9], 0.5
	v_mul_f64 v[21:22], v[23:24], 0.5
	;; [unrolled: 1-line block ×3, first 2 shown]
	s_waitcnt vmcnt(1)
	v_mul_f64 v[19:20], v[8:9], v[2:3]
	v_fma_f64 v[23:24], v[21:22], v[2:3], v[17:18]
	v_fma_f64 v[2:3], v[21:22], v[2:3], -v[17:18]
	v_fma_f64 v[25:26], v[15:16], 0.5, v[19:20]
	v_fma_f64 v[19:20], v[15:16], 0.5, -v[19:20]
	v_fma_f64 v[17:18], -v[0:1], v[8:9], v[23:24]
	v_fma_f64 v[2:3], -v[0:1], v[8:9], v[2:3]
	v_fma_f64 v[15:16], v[21:22], v[0:1], v[25:26]
	v_fma_f64 v[0:1], -v[21:22], v[0:1], v[19:20]
	ds_write_b128 v12, v[15:18]
	ds_write_b128 v14, v[0:3] offset:23296
	ds_read_b128 v[0:3], v11
	ds_read_b128 v[15:18], v14 offset:20384
	s_waitcnt lgkmcnt(0)
	v_add_f64 v[8:9], v[0:1], -v[15:16]
	v_add_f64 v[12:13], v[2:3], v[17:18]
	v_add_f64 v[2:3], v[2:3], -v[17:18]
	v_add_f64 v[0:1], v[0:1], v[15:16]
	v_mul_f64 v[8:9], v[8:9], 0.5
	v_mul_f64 v[12:13], v[12:13], 0.5
	;; [unrolled: 1-line block ×3, first 2 shown]
	s_waitcnt vmcnt(0)
	v_mul_f64 v[15:16], v[8:9], v[6:7]
	v_fma_f64 v[17:18], v[12:13], v[6:7], v[2:3]
	v_fma_f64 v[6:7], v[12:13], v[6:7], -v[2:3]
	v_fma_f64 v[19:20], v[0:1], 0.5, v[15:16]
	v_fma_f64 v[15:16], v[0:1], 0.5, -v[15:16]
	v_fma_f64 v[2:3], -v[4:5], v[8:9], v[17:18]
	v_fma_f64 v[6:7], -v[4:5], v[8:9], v[6:7]
	v_fma_f64 v[0:1], v[12:13], v[4:5], v[19:20]
	v_fma_f64 v[4:5], -v[12:13], v[4:5], v[15:16]
	ds_write_b128 v11, v[0:3]
	ds_write_b128 v14, v[4:7] offset:20384
	s_and_saveexec_b64 s[2:3], vcc
	s_cbranch_execz .LBB0_29
; %bb.28:
	v_mov_b32_e32 v61, v62
	v_lshlrev_b64 v[0:1], 4, v[60:61]
	v_mov_b32_e32 v2, s7
	v_add_co_u32_e32 v0, vcc, s6, v0
	v_addc_co_u32_e32 v1, vcc, v2, v1, vcc
	global_load_dwordx4 v[0:3], v[0:1], off
	ds_read_b128 v[4:7], v10
	ds_read_b128 v[15:18], v14 offset:17472
	s_waitcnt lgkmcnt(0)
	v_add_f64 v[8:9], v[4:5], -v[15:16]
	v_add_f64 v[11:12], v[6:7], v[17:18]
	v_add_f64 v[6:7], v[6:7], -v[17:18]
	v_add_f64 v[4:5], v[4:5], v[15:16]
	v_mul_f64 v[8:9], v[8:9], 0.5
	v_mul_f64 v[11:12], v[11:12], 0.5
	;; [unrolled: 1-line block ×3, first 2 shown]
	s_waitcnt vmcnt(0)
	v_mul_f64 v[15:16], v[8:9], v[2:3]
	v_fma_f64 v[17:18], v[11:12], v[2:3], v[6:7]
	v_fma_f64 v[2:3], v[11:12], v[2:3], -v[6:7]
	v_fma_f64 v[6:7], v[4:5], 0.5, v[15:16]
	v_fma_f64 v[15:16], v[4:5], 0.5, -v[15:16]
	v_fma_f64 v[4:5], -v[0:1], v[8:9], v[17:18]
	v_fma_f64 v[8:9], -v[0:1], v[8:9], v[2:3]
	v_fma_f64 v[2:3], v[11:12], v[0:1], v[6:7]
	v_fma_f64 v[6:7], -v[11:12], v[0:1], v[15:16]
	ds_write_b128 v10, v[2:5]
	ds_write_b128 v14, v[6:9] offset:17472
.LBB0_29:
	s_or_b64 exec, exec, s[2:3]
	s_waitcnt lgkmcnt(0)
	s_barrier
	s_and_saveexec_b64 s[2:3], s[0:1]
	s_cbranch_execz .LBB0_32
; %bb.30:
	buffer_load_dword v1, off, s[48:51], 0  ; 4-byte Folded Reload
	buffer_load_dword v2, off, s[48:51], 0 offset:4 ; 4-byte Folded Reload
	v_mov_b32_e32 v0, s13
	v_mov_b32_e32 v57, 0
	v_lshlrev_b64 v[10:11], 4, v[56:57]
	s_movk_i32 s0, 0xb5
	s_waitcnt vmcnt(1)
	v_add_co_u32_e32 v1, vcc, s12, v1
	s_waitcnt vmcnt(0)
	v_addc_co_u32_e32 v0, vcc, v0, v2, vcc
	ds_read_b128 v[2:5], v254
	ds_read_b128 v[6:9], v254 offset:2912
	v_add_co_u32_e32 v10, vcc, v1, v10
	v_addc_co_u32_e32 v11, vcc, v0, v11, vcc
	s_waitcnt lgkmcnt(1)
	global_store_dwordx4 v[10:11], v[2:5], off
	s_waitcnt lgkmcnt(0)
	global_store_dwordx4 v[10:11], v[6:9], off offset:2912
	ds_read_b128 v[2:5], v254 offset:5824
	ds_read_b128 v[6:9], v254 offset:8736
	v_add_co_u32_e32 v12, vcc, 0x1000, v10
	v_addc_co_u32_e32 v13, vcc, 0, v11, vcc
	s_waitcnt lgkmcnt(1)
	global_store_dwordx4 v[12:13], v[2:5], off offset:1728
	v_add_co_u32_e32 v12, vcc, 0x2000, v10
	ds_read_b128 v[2:5], v254 offset:11648
	v_addc_co_u32_e32 v13, vcc, 0, v11, vcc
	s_waitcnt lgkmcnt(1)
	global_store_dwordx4 v[12:13], v[6:9], off offset:544
	ds_read_b128 v[6:9], v254 offset:14560
	s_waitcnt lgkmcnt(1)
	global_store_dwordx4 v[12:13], v[2:5], off offset:3456
	s_nop 0
	v_add_co_u32_e32 v2, vcc, 0x3000, v10
	v_addc_co_u32_e32 v3, vcc, 0, v11, vcc
	s_waitcnt lgkmcnt(0)
	global_store_dwordx4 v[2:3], v[6:9], off offset:2272
	ds_read_b128 v[2:5], v254 offset:17472
	ds_read_b128 v[6:9], v254 offset:20384
	v_add_co_u32_e32 v12, vcc, 0x4000, v10
	v_addc_co_u32_e32 v13, vcc, 0, v11, vcc
	s_waitcnt lgkmcnt(1)
	global_store_dwordx4 v[12:13], v[2:5], off offset:1088
	s_waitcnt lgkmcnt(0)
	global_store_dwordx4 v[12:13], v[6:9], off offset:4000
	ds_read_b128 v[2:5], v254 offset:23296
	ds_read_b128 v[6:9], v254 offset:26208
	v_add_co_u32_e32 v12, vcc, 0x5000, v10
	v_addc_co_u32_e32 v13, vcc, 0, v11, vcc
	s_waitcnt lgkmcnt(1)
	global_store_dwordx4 v[12:13], v[2:5], off offset:2816
	s_nop 0
	v_add_co_u32_e32 v2, vcc, 0x6000, v10
	v_addc_co_u32_e32 v3, vcc, 0, v11, vcc
	s_waitcnt lgkmcnt(0)
	global_store_dwordx4 v[2:3], v[6:9], off offset:1632
	ds_read_b128 v[2:5], v254 offset:29120
	v_add_co_u32_e32 v6, vcc, 0x7000, v10
	v_addc_co_u32_e32 v7, vcc, 0, v11, vcc
	v_cmp_eq_u32_e32 vcc, s0, v56
	s_waitcnt lgkmcnt(0)
	global_store_dwordx4 v[6:7], v[2:5], off offset:448
	s_and_b64 exec, exec, vcc
	s_cbranch_execz .LBB0_32
; %bb.31:
	ds_read_b128 v[2:5], v57 offset:32032
	v_add_co_u32_e32 v6, vcc, 0x7000, v1
	v_addc_co_u32_e32 v7, vcc, 0, v0, vcc
	s_waitcnt lgkmcnt(0)
	global_store_dwordx4 v[6:7], v[2:5], off offset:3360
.LBB0_32:
	s_endpgm
	.section	.rodata,"a",@progbits
	.p2align	6, 0x0
	.amdhsa_kernel fft_rtc_back_len2002_factors_2_13_7_11_wgs_182_tpt_182_halfLds_dp_ip_CI_unitstride_sbrr_R2C_dirReg
		.amdhsa_group_segment_fixed_size 0
		.amdhsa_private_segment_fixed_size 20
		.amdhsa_kernarg_size 88
		.amdhsa_user_sgpr_count 6
		.amdhsa_user_sgpr_private_segment_buffer 1
		.amdhsa_user_sgpr_dispatch_ptr 0
		.amdhsa_user_sgpr_queue_ptr 0
		.amdhsa_user_sgpr_kernarg_segment_ptr 1
		.amdhsa_user_sgpr_dispatch_id 0
		.amdhsa_user_sgpr_flat_scratch_init 0
		.amdhsa_user_sgpr_private_segment_size 0
		.amdhsa_uses_dynamic_stack 0
		.amdhsa_system_sgpr_private_segment_wavefront_offset 1
		.amdhsa_system_sgpr_workgroup_id_x 1
		.amdhsa_system_sgpr_workgroup_id_y 0
		.amdhsa_system_sgpr_workgroup_id_z 0
		.amdhsa_system_sgpr_workgroup_info 0
		.amdhsa_system_vgpr_workitem_id 0
		.amdhsa_next_free_vgpr 255
		.amdhsa_next_free_sgpr 52
		.amdhsa_reserve_vcc 1
		.amdhsa_reserve_flat_scratch 0
		.amdhsa_float_round_mode_32 0
		.amdhsa_float_round_mode_16_64 0
		.amdhsa_float_denorm_mode_32 3
		.amdhsa_float_denorm_mode_16_64 3
		.amdhsa_dx10_clamp 1
		.amdhsa_ieee_mode 1
		.amdhsa_fp16_overflow 0
		.amdhsa_exception_fp_ieee_invalid_op 0
		.amdhsa_exception_fp_denorm_src 0
		.amdhsa_exception_fp_ieee_div_zero 0
		.amdhsa_exception_fp_ieee_overflow 0
		.amdhsa_exception_fp_ieee_underflow 0
		.amdhsa_exception_fp_ieee_inexact 0
		.amdhsa_exception_int_div_zero 0
	.end_amdhsa_kernel
	.text
.Lfunc_end0:
	.size	fft_rtc_back_len2002_factors_2_13_7_11_wgs_182_tpt_182_halfLds_dp_ip_CI_unitstride_sbrr_R2C_dirReg, .Lfunc_end0-fft_rtc_back_len2002_factors_2_13_7_11_wgs_182_tpt_182_halfLds_dp_ip_CI_unitstride_sbrr_R2C_dirReg
                                        ; -- End function
	.section	.AMDGPU.csdata,"",@progbits
; Kernel info:
; codeLenInByte = 14440
; NumSgprs: 56
; NumVgprs: 255
; ScratchSize: 20
; MemoryBound: 0
; FloatMode: 240
; IeeeMode: 1
; LDSByteSize: 0 bytes/workgroup (compile time only)
; SGPRBlocks: 6
; VGPRBlocks: 63
; NumSGPRsForWavesPerEU: 56
; NumVGPRsForWavesPerEU: 255
; Occupancy: 1
; WaveLimiterHint : 1
; COMPUTE_PGM_RSRC2:SCRATCH_EN: 1
; COMPUTE_PGM_RSRC2:USER_SGPR: 6
; COMPUTE_PGM_RSRC2:TRAP_HANDLER: 0
; COMPUTE_PGM_RSRC2:TGID_X_EN: 1
; COMPUTE_PGM_RSRC2:TGID_Y_EN: 0
; COMPUTE_PGM_RSRC2:TGID_Z_EN: 0
; COMPUTE_PGM_RSRC2:TIDIG_COMP_CNT: 0
	.type	__hip_cuid_5bf6dc03c9949b22,@object ; @__hip_cuid_5bf6dc03c9949b22
	.section	.bss,"aw",@nobits
	.globl	__hip_cuid_5bf6dc03c9949b22
__hip_cuid_5bf6dc03c9949b22:
	.byte	0                               ; 0x0
	.size	__hip_cuid_5bf6dc03c9949b22, 1

	.ident	"AMD clang version 19.0.0git (https://github.com/RadeonOpenCompute/llvm-project roc-6.4.0 25133 c7fe45cf4b819c5991fe208aaa96edf142730f1d)"
	.section	".note.GNU-stack","",@progbits
	.addrsig
	.addrsig_sym __hip_cuid_5bf6dc03c9949b22
	.amdgpu_metadata
---
amdhsa.kernels:
  - .args:
      - .actual_access:  read_only
        .address_space:  global
        .offset:         0
        .size:           8
        .value_kind:     global_buffer
      - .offset:         8
        .size:           8
        .value_kind:     by_value
      - .actual_access:  read_only
        .address_space:  global
        .offset:         16
        .size:           8
        .value_kind:     global_buffer
      - .actual_access:  read_only
        .address_space:  global
        .offset:         24
        .size:           8
        .value_kind:     global_buffer
      - .offset:         32
        .size:           8
        .value_kind:     by_value
      - .actual_access:  read_only
        .address_space:  global
        .offset:         40
        .size:           8
        .value_kind:     global_buffer
      - .actual_access:  read_only
        .address_space:  global
        .offset:         48
        .size:           8
        .value_kind:     global_buffer
      - .offset:         56
        .size:           4
        .value_kind:     by_value
      - .actual_access:  read_only
        .address_space:  global
        .offset:         64
        .size:           8
        .value_kind:     global_buffer
      - .actual_access:  read_only
        .address_space:  global
        .offset:         72
        .size:           8
        .value_kind:     global_buffer
      - .address_space:  global
        .offset:         80
        .size:           8
        .value_kind:     global_buffer
    .group_segment_fixed_size: 0
    .kernarg_segment_align: 8
    .kernarg_segment_size: 88
    .language:       OpenCL C
    .language_version:
      - 2
      - 0
    .max_flat_workgroup_size: 182
    .name:           fft_rtc_back_len2002_factors_2_13_7_11_wgs_182_tpt_182_halfLds_dp_ip_CI_unitstride_sbrr_R2C_dirReg
    .private_segment_fixed_size: 20
    .sgpr_count:     56
    .sgpr_spill_count: 0
    .symbol:         fft_rtc_back_len2002_factors_2_13_7_11_wgs_182_tpt_182_halfLds_dp_ip_CI_unitstride_sbrr_R2C_dirReg.kd
    .uniform_work_group_size: 1
    .uses_dynamic_stack: false
    .vgpr_count:     255
    .vgpr_spill_count: 4
    .wavefront_size: 64
amdhsa.target:   amdgcn-amd-amdhsa--gfx906
amdhsa.version:
  - 1
  - 2
...

	.end_amdgpu_metadata
